;; amdgpu-corpus repo=ggml-org/llama.cpp kind=compiled arch=gfx90a opt=O3
	.text
	.amdgcn_target "amdgcn-amd-amdhsa--gfx90a"
	.amdhsa_code_object_version 6
	.section	.text._ZL15flash_attn_tileILi512ELi512ELi4ELi8ELb0EEvPKcS1_S1_S1_S1_PKiPfP15HIP_vector_typeIfLj2EEffffjfiS5_IjLj3EEiiiiiiiiiiiliiliiiiil,"axG",@progbits,_ZL15flash_attn_tileILi512ELi512ELi4ELi8ELb0EEvPKcS1_S1_S1_S1_PKiPfP15HIP_vector_typeIfLj2EEffffjfiS5_IjLj3EEiiiiiiiiiiiliiliiiiil,comdat
	.globl	_ZL15flash_attn_tileILi512ELi512ELi4ELi8ELb0EEvPKcS1_S1_S1_S1_PKiPfP15HIP_vector_typeIfLj2EEffffjfiS5_IjLj3EEiiiiiiiiiiiliiliiiiil ; -- Begin function _ZL15flash_attn_tileILi512ELi512ELi4ELi8ELb0EEvPKcS1_S1_S1_S1_PKiPfP15HIP_vector_typeIfLj2EEffffjfiS5_IjLj3EEiiiiiiiiiiiliiliiiiil
	.p2align	8
	.type	_ZL15flash_attn_tileILi512ELi512ELi4ELi8ELb0EEvPKcS1_S1_S1_S1_PKiPfP15HIP_vector_typeIfLj2EEffffjfiS5_IjLj3EEiiiiiiiiiiiliiliiiiil,@function
_ZL15flash_attn_tileILi512ELi512ELi4ELi8ELb0EEvPKcS1_S1_S1_S1_PKiPfP15HIP_vector_typeIfLj2EEffffjfiS5_IjLj3EEiiiiiiiiiiiliiliiiiil: ; @_ZL15flash_attn_tileILi512ELi512ELi4ELi8ELb0EEvPKcS1_S1_S1_S1_PKiPfP15HIP_vector_typeIfLj2EEffffjfiS5_IjLj3EEiiiiiiiiiiiliiliiiiil
; %bb.0:
	s_load_dwordx4 s[36:39], s[4:5], 0x5c
	s_load_dwordx2 s[34:35], s[4:5], 0x80
	s_load_dwordx16 s[16:31], s[4:5], 0x0
	s_mov_b64 s[40:41], 0
	s_waitcnt lgkmcnt(0)
	s_ashr_i32 s0, s39, 31
	s_lshr_b32 s0, s0, 29
	s_add_i32 s0, s39, s0
	s_ashr_i32 s0, s0, 3
	v_cvt_f32_u32_e32 v1, s0
	s_sub_i32 s1, 0, s0
	v_rcp_iflag_f32_e32 v1, v1
	v_mul_f32_e32 v1, 0x4f7ffffe, v1
	v_cvt_u32_f32_e32 v1, v1
	v_readfirstlane_b32 s2, v1
	s_mul_i32 s1, s1, s2
	s_mul_hi_u32 s1, s2, s1
	s_add_i32 s2, s2, s1
	s_mul_hi_u32 s1, s8, s2
	s_mul_i32 s2, s1, s0
	s_sub_i32 s2, s8, s2
	s_add_i32 s3, s1, 1
	s_sub_i32 s9, s2, s0
	s_cmp_ge_u32 s2, s0
	s_cselect_b32 s1, s3, s1
	s_cselect_b32 s2, s9, s2
	s_add_i32 s3, s1, 1
	s_cmp_ge_u32 s2, s0
	s_cselect_b32 s33, s3, s1
	s_abs_i32 s0, s35
	v_cvt_f32_u32_e32 v1, s0
	s_lshl_b32 s1, s8, 3
	s_mul_i32 s8, s33, s39
	s_xor_b32 s2, s39, s35
	v_rcp_iflag_f32_e32 v1, v1
	s_sub_i32 s9, 0, s0
	s_sub_i32 s35, s1, s8
	s_abs_i32 s3, s39
	v_mul_f32_e32 v1, 0x4f7ffffe, v1
	v_cvt_u32_f32_e32 v1, v1
	s_ashr_i32 s2, s2, 31
	v_readfirstlane_b32 s1, v1
	s_mul_i32 s9, s9, s1
	s_mul_hi_u32 s8, s1, s9
	s_add_i32 s1, s1, s8
	s_mul_hi_u32 s1, s3, s1
	s_mul_i32 s8, s1, s0
	s_sub_i32 s3, s3, s8
	s_add_i32 s9, s1, 1
	s_sub_i32 s8, s3, s0
	s_cmp_ge_u32 s3, s0
	s_cselect_b32 s1, s9, s1
	s_cselect_b32 s3, s8, s3
	s_add_i32 s8, s1, 1
	s_cmp_ge_u32 s3, s0
	s_cselect_b32 s0, s8, s1
	s_xor_b32 s0, s0, s2
	s_sub_i32 s11, s0, s2
	s_abs_i32 s10, s11
	v_cvt_f32_u32_e32 v1, s10
	s_load_dwordx2 s[8:9], s[4:5], 0xb8
	s_cmp_eq_u64 s[22:23], 0
	v_rcp_iflag_f32_e32 v1, v1
	v_mul_f32_e32 v1, 0x4f7ffffe, v1
	v_cvt_u32_f32_e32 v1, v1
	v_readfirstlane_b32 s12, v1
	s_cbranch_scc1 .LBB0_2
; %bb.1:
	s_waitcnt lgkmcnt(0)
	s_abs_i32 s2, s8
	v_cvt_f32_u32_e32 v1, s2
	s_sub_i32 s13, 0, s2
	s_abs_i32 s8, s33
	s_ashr_i32 s3, s33, 31
	v_rcp_iflag_f32_e32 v1, v1
	s_load_dwordx2 s[0:1], s[4:5], 0xc8
	v_mul_f32_e32 v1, 0x4f7ffffe, v1
	v_cvt_u32_f32_e32 v1, v1
	v_readfirstlane_b32 s14, v1
	s_mul_i32 s13, s13, s14
	s_mul_hi_u32 s13, s14, s13
	s_add_i32 s14, s14, s13
	s_mul_hi_u32 s13, s8, s14
	s_mul_i32 s13, s13, s2
	s_sub_i32 s8, s8, s13
	s_sub_i32 s13, s8, s2
	s_cmp_ge_u32 s8, s2
	s_cselect_b32 s8, s13, s8
	s_sub_i32 s13, s8, s2
	s_cmp_ge_u32 s8, s2
	s_cselect_b32 s2, s13, s8
	s_xor_b32 s2, s2, s3
	s_sub_i32 s2, s2, s3
	s_ashr_i32 s3, s2, 31
	s_waitcnt lgkmcnt(0)
	s_mul_i32 s1, s2, s1
	s_mul_hi_u32 s8, s2, s0
	s_add_i32 s1, s8, s1
	s_mul_i32 s3, s3, s0
	s_add_i32 s1, s1, s3
	s_mul_i32 s2, s2, s0
	s_add_u32 s40, s22, s2
	s_addc_u32 s41, s23, s1
.LBB0_2:
	s_load_dwordx4 s[0:3], s[4:5], 0x70
	v_bfe_u32 v1, v0, 10, 10
	v_lshrrev_b32_e32 v2, 2, v1
	v_lshl_add_u32 v21, s6, 2, v2
	v_mul_hi_u32 v2, s36, v21
	s_waitcnt lgkmcnt(0)
	s_mul_i32 s2, s33, s2
	s_ashr_i32 s8, s2, 31
	s_mul_i32 s3, s35, s1
	s_add_u32 s2, s16, s2
	s_addc_u32 s8, s17, s8
	s_ashr_i32 s13, s3, 31
	v_add_u32_e32 v2, v21, v2
	s_add_u32 s14, s2, s3
	v_lshrrev_b32_e32 v2, s37, v2
	s_addc_u32 s8, s8, s13
	v_mul_lo_u32 v2, v2, s38
	s_ashr_i32 s15, s0, 31
	v_mov_b32_e32 v4, s0
	v_sub_u32_e32 v2, v21, v2
	v_alignbit_b32 v4, s15, v4, 2
	v_mad_u64_u32 v[4:5], s[2:3], v4, v2, 0
	v_mov_b32_e32 v6, v5
	s_lshr_b32 s0, s15, 2
	v_mad_u64_u32 v[6:7], s[2:3], s0, v2, v[6:7]
	v_mov_b32_e32 v5, v6
	v_lshlrev_b64 v[4:5], 2, v[4:5]
	v_and_b32_e32 v20, 0x3ff, v0
	v_mov_b32_e32 v0, s8
	v_add_co_u32_e32 v4, vcc, s14, v4
	v_addc_co_u32_e32 v0, vcc, v0, v5, vcc
	v_lshlrev_b32_e32 v5, 4, v20
	v_add_co_u32_e32 v26, vcc, v4, v5
	v_lshlrev_b32_e32 v3, 1, v1
	s_ashr_i32 s13, s1, 31
	v_addc_co_u32_e32 v27, vcc, 0, v0, vcc
	v_mov_b32_e32 v0, s1
	v_and_b32_e32 v33, 6, v3
	v_alignbit_b32 v24, s13, v0, 2
	v_mad_u64_u32 v[4:5], s[0:1], v24, v33, 0
	v_mov_b32_e32 v0, v5
	s_lshr_b32 s2, s13, 2
	v_mad_u64_u32 v[6:7], s[0:1], s2, v33, v[0:1]
	v_mov_b32_e32 v5, v6
	v_lshlrev_b64 v[4:5], 2, v[4:5]
	v_add_co_u32_e32 v22, vcc, v26, v4
	v_addc_co_u32_e32 v23, vcc, v27, v5, vcc
	global_load_dwordx4 v[4:7], v[22:23], off
	global_load_dwordx4 v[8:11], v[22:23], off offset:512
	global_load_dwordx4 v[12:15], v[22:23], off offset:1024
	;; [unrolled: 1-line block ×3, first 2 shown]
	v_or_b32_e32 v3, 1, v3
	v_and_b32_e32 v25, 7, v3
	v_mad_u64_u32 v[22:23], s[0:1], v24, v25, 0
	v_mov_b32_e32 v0, v23
	v_mad_u64_u32 v[24:25], s[0:1], s2, v25, v[0:1]
	v_mov_b32_e32 v23, v24
	v_lshlrev_b64 v[22:23], 2, v[22:23]
	v_add_co_u32_e32 v30, vcc, v26, v22
	v_addc_co_u32_e32 v31, vcc, v27, v23, vcc
	global_load_dwordx4 v[22:25], v[30:31], off
	global_load_dwordx4 v[26:29], v[30:31], off offset:512
	global_load_dwordx4 v[34:37], v[30:31], off offset:1024
	global_load_dwordx4 v[38:41], v[30:31], off offset:1536
	s_load_dword s0, s[4:5], 0x40
	s_mov_b32 s1, 0
	v_lshlrev_b32_e32 v30, 1, v20
	v_lshlrev_b32_e32 v0, 9, v1
	v_add_lshl_u32 v31, v0, v30, 2
	v_lshlrev_b32_e32 v3, 8, v3
	v_add_lshl_u32 v3, v3, v30, 2
	s_cmp_eq_u64 s[26:27], 0
	s_waitcnt vmcnt(7) lgkmcnt(0)
	v_pk_mul_f32 v[4:5], v[4:5], s[0:1] op_sel_hi:[1,0]
	v_pk_mul_f32 v[6:7], v[6:7], s[0:1] op_sel_hi:[1,0]
	s_waitcnt vmcnt(6)
	v_pk_mul_f32 v[8:9], v[8:9], s[0:1] op_sel_hi:[1,0]
	v_pk_mul_f32 v[10:11], v[10:11], s[0:1] op_sel_hi:[1,0]
	v_cvt_f16_f32_e32 v32, v5
	v_cvt_f16_f32_e32 v4, v4
	;; [unrolled: 1-line block ×8, first 2 shown]
	v_pack_b32_f16 v5, v6, v5
	v_pack_b32_f16 v4, v4, v32
	;; [unrolled: 1-line block ×4, first 2 shown]
	s_waitcnt vmcnt(5)
	v_pk_mul_f32 v[12:13], v[12:13], s[0:1] op_sel_hi:[1,0]
	v_pk_mul_f32 v[14:15], v[14:15], s[0:1] op_sel_hi:[1,0]
	s_waitcnt vmcnt(4)
	v_pk_mul_f32 v[16:17], v[16:17], s[0:1] op_sel_hi:[1,0]
	ds_write2_b64 v31, v[4:5], v[6:7] offset1:32
	v_pk_mul_f32 v[4:5], v[18:19], s[0:1] op_sel_hi:[1,0]
	v_cvt_f16_f32_e32 v11, v13
	v_cvt_f16_f32_e32 v12, v12
	;; [unrolled: 1-line block ×8, first 2 shown]
	v_pack_b32_f16 v5, v14, v13
	v_pack_b32_f16 v4, v12, v11
	;; [unrolled: 1-line block ×4, first 2 shown]
	ds_write2_b64 v31, v[4:5], v[6:7] offset0:64 offset1:96
	s_waitcnt vmcnt(3)
	v_pk_mul_f32 v[4:5], v[22:23], s[0:1] op_sel_hi:[1,0]
	v_cvt_f16_f32_e32 v8, v5
	v_cvt_f16_f32_e32 v9, v4
	v_pk_mul_f32 v[4:5], v[24:25], s[0:1] op_sel_hi:[1,0]
	v_cvt_f16_f32_e32 v10, v5
	v_cvt_f16_f32_e32 v11, v4
	s_waitcnt vmcnt(2)
	v_pk_mul_f32 v[4:5], v[26:27], s[0:1] op_sel_hi:[1,0]
	v_pk_mul_f32 v[6:7], v[28:29], s[0:1] op_sel_hi:[1,0]
	v_cvt_f16_f32_e32 v12, v5
	v_cvt_f16_f32_e32 v7, v7
	;; [unrolled: 1-line block ×4, first 2 shown]
	v_pack_b32_f16 v5, v11, v10
	v_pack_b32_f16 v4, v9, v8
	;; [unrolled: 1-line block ×4, first 2 shown]
	ds_write2_b64 v3, v[4:5], v[6:7] offset1:32
	s_waitcnt vmcnt(1)
	v_pk_mul_f32 v[4:5], v[34:35], s[0:1] op_sel_hi:[1,0]
	v_cvt_f16_f32_e32 v8, v5
	v_cvt_f16_f32_e32 v9, v4
	v_pk_mul_f32 v[4:5], v[36:37], s[0:1] op_sel_hi:[1,0]
	v_cvt_f16_f32_e32 v10, v5
	v_cvt_f16_f32_e32 v11, v4
	s_waitcnt vmcnt(0)
	v_pk_mul_f32 v[4:5], v[38:39], s[0:1] op_sel_hi:[1,0]
	v_pk_mul_f32 v[6:7], v[40:41], s[0:1] op_sel_hi:[1,0]
	v_cvt_f16_f32_e32 v12, v5
	v_cvt_f16_f32_e32 v7, v7
	;; [unrolled: 1-line block ×4, first 2 shown]
	v_pack_b32_f16 v5, v11, v10
	v_pack_b32_f16 v4, v9, v8
	;; [unrolled: 1-line block ×4, first 2 shown]
	ds_write2_b64 v3, v[4:5], v[6:7] offset0:64 offset1:96
	s_waitcnt lgkmcnt(0)
	s_barrier
	s_cbranch_scc1 .LBB0_4
; %bb.3:
	s_load_dword s0, s[4:5], 0xd0
	s_waitcnt lgkmcnt(0)
	s_mul_i32 s0, s0, s33
	s_add_i32 s0, s0, s6
	s_lshl_b64 s[0:1], s[0:1], 2
	s_add_u32 s0, s26, s0
	s_addc_u32 s1, s27, s1
	s_load_dword s34, s[0:1], 0x0
.LBB0_4:
	s_lshl_b32 s26, s7, 7
	v_lshlrev_b32_e32 v61, 2, v20
	s_waitcnt lgkmcnt(0)
	s_cmp_lt_i32 s26, s34
	v_mbcnt_lo_u32_b32 v3, -1, 0
	s_cbranch_scc1 .LBB0_6
; %bb.5:
	v_mbcnt_hi_u32_b32 v25, -1, v3
	v_and_b32_e32 v4, 0x60, v25
	s_mov_b32 s0, 0xfeffffff
	s_mov_b32 s6, 0
	v_add_u32_e32 v62, 32, v4
	v_xor_b32_e32 v67, 16, v25
	v_xor_b32_e32 v66, 8, v25
	;; [unrolled: 1-line block ×5, first 2 shown]
	s_mov_b32 s1, s0
	s_mov_b64 s[2:3], 0
	s_branch .LBB0_7
.LBB0_6:
	s_mov_b64 s[2:3], -1
                                        ; implicit-def: $sgpr6
                                        ; implicit-def: $sgpr0_sgpr1
                                        ; implicit-def: $vgpr25
                                        ; implicit-def: $vgpr62
                                        ; implicit-def: $vgpr67
                                        ; implicit-def: $vgpr66
                                        ; implicit-def: $vgpr65
                                        ; implicit-def: $vgpr64
                                        ; implicit-def: $vgpr63
.LBB0_7:
	s_andn2_b64 vcc, exec, s[2:3]
	v_mov_b32_e32 v23, s6
	v_mov_b32_e32 v98, s6
	v_pk_mov_b32 v[34:35], s[0:1], s[0:1] op_sel:[0,1]
	v_mov_b32_e32 v97, s6
	v_mov_b32_e32 v22, s6
	;; [unrolled: 1-line block ×16, first 2 shown]
	s_cbranch_vccnz .LBB0_10
; %bb.8:
	s_sub_i32 s0, 0, s10
	s_mul_i32 s0, s0, s12
	s_mul_hi_u32 s0, s12, s0
	s_add_i32 s8, s12, s0
	s_load_dwordx2 s[12:13], s[4:5], 0x8c
	s_load_dwordx4 s[0:3], s[4:5], 0x98
	s_abs_i32 s6, s35
	s_mul_hi_u32 s8, s6, s8
	s_ashr_i32 s16, s35, 31
	s_waitcnt lgkmcnt(0)
	s_ashr_i32 s36, s12, 2
	s_ashr_i32 s27, s2, 2
	;; [unrolled: 1-line block ×4, first 2 shown]
	s_mul_i32 s1, s33, s1
	s_mul_hi_u32 s12, s33, s0
	s_add_i32 s1, s12, s1
	s_mul_i32 s12, s9, s0
	s_ashr_i32 s11, s11, 31
	s_add_i32 s1, s1, s12
	s_mul_i32 s0, s33, s0
	s_add_u32 s0, s18, s0
	s_mul_i32 s12, s8, s10
	s_addc_u32 s1, s19, s1
	s_sub_i32 s6, s6, s12
	s_xor_b32 s11, s16, s11
	s_add_i32 s12, s8, 1
	s_sub_i32 s16, s6, s10
	s_cmp_ge_u32 s6, s10
	s_cselect_b32 s8, s12, s8
	s_cselect_b32 s6, s16, s6
	s_add_i32 s12, s8, 1
	s_cmp_ge_u32 s6, s10
	s_cselect_b32 s6, s12, s8
	s_load_dwordx2 s[14:15], s[4:5], 0xa8
	s_xor_b32 s6, s6, s11
	s_sub_i32 s6, s6, s11
	s_mul_i32 s8, s6, s13
	s_ashr_i32 s10, s8, 31
	s_add_u32 s37, s0, s8
	s_addc_u32 s42, s1, s10
	s_waitcnt lgkmcnt(0)
	s_mul_i32 s0, s33, s15
	s_mul_hi_u32 s1, s33, s14
	s_add_i32 s0, s1, s0
	s_mul_i32 s9, s9, s14
	s_add_i32 s0, s0, s9
	s_mul_i32 s1, s33, s14
	s_add_u32 s1, s20, s1
	s_mul_i32 s6, s6, s3
	s_addc_u32 s0, s21, s0
	s_ashr_i32 s3, s6, 31
	v_lshrrev_b32_e32 v4, 3, v20
	s_add_u32 s6, s1, s6
	v_lshl_add_u32 v5, v1, 2, v4
	v_and_b32_e32 v4, 28, v61
	s_addc_u32 s3, s0, s3
	v_lshlrev_b32_e32 v6, 2, v4
	s_movk_i32 s0, 0x90
	v_mad_u32_u24 v8, v5, s0, v6
	v_add_u32_e32 v68, 0x8000, v8
	v_add_u32_e32 v69, 0xa400, v8
	v_mov_b32_e32 v8, 0x8010
	v_mad_u32_u24 v72, v20, s0, v8
	v_mov_b32_e32 v8, 0x8020
	v_mad_u32_u24 v73, v20, s0, v8
	;; [unrolled: 2-line block ×5, first 2 shown]
	v_mov_b32_e32 v8, 0x8060
	v_mul_lo_u32 v6, s36, v5
	v_mov_b32_e32 v5, 0x8000
	v_mad_u32_u24 v77, v20, s0, v8
	v_mov_b32_e32 v8, 0x8070
	v_mad_u32_u24 v70, v20, s0, v5
	v_mad_u32_u24 v78, v20, s0, v8
	v_mad_u64_u32 v[24:25], s[0:1], v2, s2, v[20:21]
	v_add_u32_e32 v79, 0xc800, v0
	v_lshlrev_b32_e32 v2, 2, v61
	v_mul_lo_u32 v0, s27, v1
	v_lshlrev_b32_e32 v71, 11, v1
	v_lshl_add_u32 v8, v1, 10, v2
	v_ashrrev_i32_e32 v1, 31, v0
	v_lshlrev_b64 v[0:1], 2, v[0:1]
	v_mov_b32_e32 v12, s3
	v_add_co_u32_e32 v0, vcc, s6, v0
	v_lshl_add_u32 v10, s36, 6, v6
	v_addc_co_u32_e32 v1, vcc, v12, v1, vcc
	v_mbcnt_hi_u32_b32 v25, -1, v3
	v_mov_b32_e32 v9, 0
	v_ashrrev_i32_e32 v7, 31, v6
	v_ashrrev_i32_e32 v11, 31, v10
	v_lshl_or_b32 v82, v20, 3, v5
	s_add_u32 s22, s4, 0xd0
	v_add_co_u32_e32 v83, vcc, v0, v2
	v_mov_b32_e32 v30, 0xfeffffff
	v_and_b32_e32 v0, 0x60, v25
	v_add_u32_e32 v80, 0x8000, v8
	v_add_u32_e32 v81, 0x8200, v8
	s_addc_u32 s23, s5, 0
	v_addc_co_u32_e32 v84, vcc, 0, v1, vcc
	v_lshlrev_b64 v[26:27], 2, v[6:7]
	v_lshlrev_b32_e32 v85, 2, v4
	v_lshlrev_b64 v[28:29], 2, v[10:11]
	v_add_u32_e32 v62, 32, v0
	v_xor_b32_e32 v67, 16, v25
	v_xor_b32_e32 v66, 8, v25
	;; [unrolled: 1-line block ×5, first 2 shown]
	v_mov_b32_e32 v86, s41
	s_mov_b32 s6, 0x40051340
	s_mov_b32 s41, 0x3fb8aa3b
	;; [unrolled: 1-line block ×4, first 2 shown]
	v_mov_b32_e32 v87, 0x7f800000
	v_add_u32_e32 v88, v79, v61
	v_add_u32_e32 v89, 0x800, v82
	;; [unrolled: 1-line block ×8, first 2 shown]
	v_mov_b32_e32 v97, 0
	v_mov_b32_e32 v8, 0
	;; [unrolled: 1-line block ×18, first 2 shown]
.LBB0_9:                                ; =>This Inner Loop Header: Depth=1
	v_cmp_lt_i32_e32 vcc, v67, v62
	v_cndmask_b32_e32 v1, v25, v67, vcc
	v_cmp_lt_i32_e32 vcc, v66, v62
	v_add_u32_e32 v0, s26, v24
	v_cndmask_b32_e32 v2, v25, v66, vcc
	v_cmp_lt_i32_e32 vcc, v65, v62
	s_mul_hi_i32 s1, s26, s36
	s_mul_i32 s0, s26, s36
	v_cndmask_b32_e32 v3, v25, v65, vcc
	v_cmp_lt_i32_e32 vcc, v64, v62
	v_lshlrev_b32_e32 v102, 2, v1
	v_ashrrev_i32_e32 v1, 31, v0
	v_cndmask_b32_e32 v4, v25, v64, vcc
	v_cmp_lt_i32_e32 vcc, v63, v62
	s_lshl_b64 s[0:1], s[0:1], 2
	v_lshlrev_b64 v[0:1], 1, v[0:1]
	v_cndmask_b32_e32 v5, v25, v63, vcc
	s_mul_hi_i32 s9, s26, s27
	s_mul_i32 s8, s26, s27
	s_add_u32 s2, s37, s0
	v_add_co_u32_e32 v0, vcc, s40, v0
	s_addc_u32 s3, s42, s1
	v_addc_co_u32_e32 v1, vcc, v86, v1, vcc
	s_lshl_b64 s[0:1], s[8:9], 2
	v_lshlrev_b32_e32 v100, 2, v3
	v_lshlrev_b32_e32 v99, 2, v4
	;; [unrolled: 1-line block ×3, first 2 shown]
	v_mov_b32_e32 v3, s3
	v_add_co_u32_e32 v4, vcc, s2, v28
	v_mov_b32_e32 v5, s1
	v_add_co_u32_e64 v56, s[0:1], s0, v83
	v_lshlrev_b32_e32 v101, 2, v2
	v_mov_b32_e32 v2, s3
	v_add_co_u32_e64 v6, s[2:3], s2, v26
	v_addc_co_u32_e32 v3, vcc, v3, v29, vcc
	v_addc_co_u32_e64 v57, s[0:1], v84, v5, s[0:1]
	v_addc_co_u32_e64 v7, s[2:3], v2, v27, s[2:3]
	v_add_co_u32_e32 v2, vcc, v4, v85
	v_add_co_u32_e64 v4, s[0:1], v6, v85
	v_addc_co_u32_e64 v5, s[0:1], 0, v7, s[0:1]
	v_addc_co_u32_e32 v3, vcc, 0, v3, vcc
	global_load_dwordx4 v[104:107], v[4:5], off
	global_load_dwordx4 v[108:111], v[2:3], off
	v_mov_b32_e32 v34, 0
	v_mov_b32_e32 v36, 0
	;; [unrolled: 1-line block ×8, first 2 shown]
	s_or_b32 s8, s26, 16
	s_or_b32 s9, s26, 32
	;; [unrolled: 1-line block ×7, first 2 shown]
	s_mul_hi_i32 s15, s8, s27
	s_mul_i32 s14, s8, s27
	s_mul_hi_i32 s17, s9, s27
	s_mul_i32 s16, s9, s27
	;; [unrolled: 2-line block ×7, first 2 shown]
	s_lshl_b64 s[2:3], s[14:15], 2
	s_lshl_b64 s[14:15], s[16:17], 2
	;; [unrolled: 1-line block ×6, first 2 shown]
	v_mov_b32_e32 v6, s3
	v_add_co_u32_e32 v54, vcc, s2, v83
	s_waitcnt vmcnt(1)
	ds_write_b128 v68, v[104:107]
	s_waitcnt vmcnt(0)
	ds_write_b128 v69, v[108:111]
	s_waitcnt lgkmcnt(0)
	s_barrier
	ds_read_b128 v[104:107], v71
	ds_read_b128 v[108:111], v70
	ds_read_b128 v[112:115], v70 offset:4608
	ds_read_b128 v[116:119], v70 offset:9216
	;; [unrolled: 1-line block ×4, first 2 shown]
	s_waitcnt lgkmcnt(4)
	;;#ASMSTART
	v_dot2_f32_f16 v34, v108, v104, v34
	;;#ASMEND
	;;#ASMSTART
	v_dot2_f32_f16 v34, v109, v105, v34
	;;#ASMEND
	;; [unrolled: 3-line block ×4, first 2 shown]
	s_waitcnt lgkmcnt(0)
	;;#ASMSTART
	v_dot2_f32_f16 v36, v108, v124, v36
	;;#ASMEND
	;;#ASMSTART
	v_dot2_f32_f16 v36, v109, v125, v36
	;;#ASMEND
	;; [unrolled: 3-line block ×28, first 2 shown]
	ds_read_b128 v[104:107], v71 offset:16
	ds_read_b128 v[108:111], v70 offset:16
	;; [unrolled: 1-line block ×6, first 2 shown]
	s_waitcnt lgkmcnt(4)
	;;#ASMSTART
	v_dot2_f32_f16 v34, v108, v104, v34
	;;#ASMEND
	;;#ASMSTART
	v_dot2_f32_f16 v34, v109, v105, v34
	;;#ASMEND
	;; [unrolled: 3-line block ×4, first 2 shown]
	s_waitcnt lgkmcnt(0)
	;;#ASMSTART
	v_dot2_f32_f16 v36, v108, v124, v36
	;;#ASMEND
	;;#ASMSTART
	v_dot2_f32_f16 v36, v109, v125, v36
	;;#ASMEND
	;; [unrolled: 3-line block ×28, first 2 shown]
	ds_read_b128 v[104:107], v71 offset:32
	ds_read_b128 v[108:111], v70 offset:32
	;; [unrolled: 1-line block ×6, first 2 shown]
	s_waitcnt lgkmcnt(4)
	;;#ASMSTART
	v_dot2_f32_f16 v34, v108, v104, v34
	;;#ASMEND
	;;#ASMSTART
	v_dot2_f32_f16 v34, v109, v105, v34
	;;#ASMEND
	;; [unrolled: 3-line block ×4, first 2 shown]
	s_waitcnt lgkmcnt(0)
	;;#ASMSTART
	v_dot2_f32_f16 v36, v108, v124, v36
	;;#ASMEND
	;;#ASMSTART
	v_dot2_f32_f16 v36, v109, v125, v36
	;;#ASMEND
	;; [unrolled: 3-line block ×28, first 2 shown]
	ds_read_b128 v[104:107], v71 offset:48
	ds_read_b128 v[108:111], v70 offset:48
	;; [unrolled: 1-line block ×6, first 2 shown]
	s_waitcnt lgkmcnt(4)
	;;#ASMSTART
	v_dot2_f32_f16 v34, v108, v104, v34
	;;#ASMEND
	;;#ASMSTART
	v_dot2_f32_f16 v34, v109, v105, v34
	;;#ASMEND
	;; [unrolled: 3-line block ×4, first 2 shown]
	s_waitcnt lgkmcnt(0)
	;;#ASMSTART
	v_dot2_f32_f16 v36, v108, v124, v36
	;;#ASMEND
	;;#ASMSTART
	v_dot2_f32_f16 v36, v109, v125, v36
	;;#ASMEND
	;; [unrolled: 3-line block ×28, first 2 shown]
	ds_read_b128 v[104:107], v71 offset:64
	ds_read_b128 v[108:111], v70 offset:64
	ds_read_b128 v[112:115], v75 offset:4608
	ds_read_b128 v[116:119], v75 offset:9216
	ds_read_b128 v[120:123], v75 offset:13824
	ds_read_b128 v[124:127], v71 offset:1088
	s_waitcnt lgkmcnt(4)
	;;#ASMSTART
	v_dot2_f32_f16 v34, v108, v104, v34
	;;#ASMEND
	;;#ASMSTART
	v_dot2_f32_f16 v34, v109, v105, v34
	;;#ASMEND
	;;#ASMSTART
	v_dot2_f32_f16 v34, v110, v106, v34
	;;#ASMEND
	;;#ASMSTART
	v_dot2_f32_f16 v34, v111, v107, v34
	;;#ASMEND
	s_waitcnt lgkmcnt(0)
	;;#ASMSTART
	v_dot2_f32_f16 v36, v108, v124, v36
	;;#ASMEND
	;;#ASMSTART
	v_dot2_f32_f16 v36, v109, v125, v36
	;;#ASMEND
	;; [unrolled: 3-line block ×28, first 2 shown]
	ds_read_b128 v[104:107], v71 offset:80
	ds_read_b128 v[108:111], v70 offset:80
	;; [unrolled: 1-line block ×6, first 2 shown]
	s_waitcnt lgkmcnt(4)
	;;#ASMSTART
	v_dot2_f32_f16 v34, v108, v104, v34
	;;#ASMEND
	;;#ASMSTART
	v_dot2_f32_f16 v34, v109, v105, v34
	;;#ASMEND
	;; [unrolled: 3-line block ×4, first 2 shown]
	s_waitcnt lgkmcnt(0)
	;;#ASMSTART
	v_dot2_f32_f16 v36, v108, v124, v36
	;;#ASMEND
	;;#ASMSTART
	v_dot2_f32_f16 v36, v109, v125, v36
	;;#ASMEND
	;; [unrolled: 3-line block ×28, first 2 shown]
	ds_read_b128 v[104:107], v71 offset:96
	ds_read_b128 v[108:111], v70 offset:96
	;; [unrolled: 1-line block ×6, first 2 shown]
	s_waitcnt lgkmcnt(4)
	;;#ASMSTART
	v_dot2_f32_f16 v34, v108, v104, v34
	;;#ASMEND
	;;#ASMSTART
	v_dot2_f32_f16 v34, v109, v105, v34
	;;#ASMEND
	;; [unrolled: 3-line block ×4, first 2 shown]
	s_waitcnt lgkmcnt(0)
	;;#ASMSTART
	v_dot2_f32_f16 v36, v108, v124, v36
	;;#ASMEND
	;;#ASMSTART
	v_dot2_f32_f16 v36, v109, v125, v36
	;;#ASMEND
	;; [unrolled: 3-line block ×28, first 2 shown]
	ds_read_b128 v[104:107], v71 offset:112
	ds_read_b128 v[108:111], v70 offset:112
	;; [unrolled: 1-line block ×6, first 2 shown]
	s_waitcnt lgkmcnt(4)
	;;#ASMSTART
	v_dot2_f32_f16 v34, v108, v104, v34
	;;#ASMEND
	;;#ASMSTART
	v_dot2_f32_f16 v34, v109, v105, v34
	;;#ASMEND
	;; [unrolled: 3-line block ×4, first 2 shown]
	s_waitcnt lgkmcnt(0)
	;;#ASMSTART
	v_dot2_f32_f16 v36, v108, v124, v36
	;;#ASMEND
	;;#ASMSTART
	v_dot2_f32_f16 v36, v109, v125, v36
	;;#ASMEND
	;; [unrolled: 3-line block ×28, first 2 shown]
	s_barrier
	global_load_dwordx4 v[104:107], v[4:5], off offset:128
	global_load_dwordx4 v[108:111], v[2:3], off offset:128
	s_waitcnt vmcnt(1)
	ds_write_b128 v68, v[104:107]
	s_waitcnt vmcnt(0)
	ds_write_b128 v69, v[108:111]
	s_waitcnt lgkmcnt(0)
	s_barrier
	ds_read_b128 v[104:107], v71 offset:128
	ds_read_b128 v[108:111], v70
	ds_read_b128 v[112:115], v70 offset:4608
	ds_read_b128 v[116:119], v70 offset:9216
	;; [unrolled: 1-line block ×4, first 2 shown]
	s_waitcnt lgkmcnt(4)
	;;#ASMSTART
	v_dot2_f32_f16 v34, v108, v104, v34
	;;#ASMEND
	;;#ASMSTART
	v_dot2_f32_f16 v34, v109, v105, v34
	;;#ASMEND
	;; [unrolled: 3-line block ×4, first 2 shown]
	s_waitcnt lgkmcnt(0)
	;;#ASMSTART
	v_dot2_f32_f16 v36, v108, v124, v36
	;;#ASMEND
	;;#ASMSTART
	v_dot2_f32_f16 v36, v109, v125, v36
	;;#ASMEND
	;; [unrolled: 3-line block ×28, first 2 shown]
	ds_read_b128 v[104:107], v71 offset:144
	ds_read_b128 v[108:111], v70 offset:16
	;; [unrolled: 1-line block ×6, first 2 shown]
	s_waitcnt lgkmcnt(4)
	;;#ASMSTART
	v_dot2_f32_f16 v34, v108, v104, v34
	;;#ASMEND
	;;#ASMSTART
	v_dot2_f32_f16 v34, v109, v105, v34
	;;#ASMEND
	;; [unrolled: 3-line block ×4, first 2 shown]
	s_waitcnt lgkmcnt(0)
	;;#ASMSTART
	v_dot2_f32_f16 v36, v108, v124, v36
	;;#ASMEND
	;;#ASMSTART
	v_dot2_f32_f16 v36, v109, v125, v36
	;;#ASMEND
	;; [unrolled: 3-line block ×28, first 2 shown]
	ds_read_b128 v[104:107], v71 offset:160
	ds_read_b128 v[108:111], v70 offset:32
	;; [unrolled: 1-line block ×6, first 2 shown]
	s_waitcnt lgkmcnt(4)
	;;#ASMSTART
	v_dot2_f32_f16 v34, v108, v104, v34
	;;#ASMEND
	;;#ASMSTART
	v_dot2_f32_f16 v34, v109, v105, v34
	;;#ASMEND
	;;#ASMSTART
	v_dot2_f32_f16 v34, v110, v106, v34
	;;#ASMEND
	;;#ASMSTART
	v_dot2_f32_f16 v34, v111, v107, v34
	;;#ASMEND
	s_waitcnt lgkmcnt(0)
	;;#ASMSTART
	v_dot2_f32_f16 v36, v108, v124, v36
	;;#ASMEND
	;;#ASMSTART
	v_dot2_f32_f16 v36, v109, v125, v36
	;;#ASMEND
	;; [unrolled: 3-line block ×28, first 2 shown]
	ds_read_b128 v[104:107], v71 offset:176
	ds_read_b128 v[108:111], v70 offset:48
	;; [unrolled: 1-line block ×6, first 2 shown]
	s_waitcnt lgkmcnt(4)
	;;#ASMSTART
	v_dot2_f32_f16 v34, v108, v104, v34
	;;#ASMEND
	;;#ASMSTART
	v_dot2_f32_f16 v34, v109, v105, v34
	;;#ASMEND
	;; [unrolled: 3-line block ×4, first 2 shown]
	s_waitcnt lgkmcnt(0)
	;;#ASMSTART
	v_dot2_f32_f16 v36, v108, v124, v36
	;;#ASMEND
	;;#ASMSTART
	v_dot2_f32_f16 v36, v109, v125, v36
	;;#ASMEND
	;; [unrolled: 3-line block ×28, first 2 shown]
	ds_read_b128 v[104:107], v71 offset:192
	ds_read_b128 v[108:111], v70 offset:64
	;; [unrolled: 1-line block ×6, first 2 shown]
	s_waitcnt lgkmcnt(4)
	;;#ASMSTART
	v_dot2_f32_f16 v34, v108, v104, v34
	;;#ASMEND
	;;#ASMSTART
	v_dot2_f32_f16 v34, v109, v105, v34
	;;#ASMEND
	;; [unrolled: 3-line block ×4, first 2 shown]
	s_waitcnt lgkmcnt(0)
	;;#ASMSTART
	v_dot2_f32_f16 v36, v108, v124, v36
	;;#ASMEND
	;;#ASMSTART
	v_dot2_f32_f16 v36, v109, v125, v36
	;;#ASMEND
	;; [unrolled: 3-line block ×28, first 2 shown]
	ds_read_b128 v[104:107], v71 offset:208
	ds_read_b128 v[108:111], v70 offset:80
	;; [unrolled: 1-line block ×6, first 2 shown]
	s_waitcnt lgkmcnt(4)
	;;#ASMSTART
	v_dot2_f32_f16 v34, v108, v104, v34
	;;#ASMEND
	;;#ASMSTART
	v_dot2_f32_f16 v34, v109, v105, v34
	;;#ASMEND
	;; [unrolled: 3-line block ×4, first 2 shown]
	s_waitcnt lgkmcnt(0)
	;;#ASMSTART
	v_dot2_f32_f16 v36, v108, v124, v36
	;;#ASMEND
	;;#ASMSTART
	v_dot2_f32_f16 v36, v109, v125, v36
	;;#ASMEND
	;; [unrolled: 3-line block ×28, first 2 shown]
	ds_read_b128 v[104:107], v71 offset:224
	ds_read_b128 v[108:111], v70 offset:96
	ds_read_b128 v[112:115], v77 offset:4608
	ds_read_b128 v[116:119], v77 offset:9216
	ds_read_b128 v[120:123], v77 offset:13824
	ds_read_b128 v[124:127], v71 offset:1248
	s_waitcnt lgkmcnt(4)
	;;#ASMSTART
	v_dot2_f32_f16 v34, v108, v104, v34
	;;#ASMEND
	;;#ASMSTART
	v_dot2_f32_f16 v34, v109, v105, v34
	;;#ASMEND
	;; [unrolled: 3-line block ×4, first 2 shown]
	s_waitcnt lgkmcnt(0)
	;;#ASMSTART
	v_dot2_f32_f16 v36, v108, v124, v36
	;;#ASMEND
	;;#ASMSTART
	v_dot2_f32_f16 v36, v109, v125, v36
	;;#ASMEND
	;; [unrolled: 3-line block ×28, first 2 shown]
	ds_read_b128 v[104:107], v71 offset:240
	ds_read_b128 v[108:111], v70 offset:112
	;; [unrolled: 1-line block ×6, first 2 shown]
	s_waitcnt lgkmcnt(4)
	;;#ASMSTART
	v_dot2_f32_f16 v34, v108, v104, v34
	;;#ASMEND
	;;#ASMSTART
	v_dot2_f32_f16 v34, v109, v105, v34
	;;#ASMEND
	;;#ASMSTART
	v_dot2_f32_f16 v34, v110, v106, v34
	;;#ASMEND
	;;#ASMSTART
	v_dot2_f32_f16 v34, v111, v107, v34
	;;#ASMEND
	s_waitcnt lgkmcnt(0)
	;;#ASMSTART
	v_dot2_f32_f16 v36, v108, v124, v36
	;;#ASMEND
	;;#ASMSTART
	v_dot2_f32_f16 v36, v109, v125, v36
	;;#ASMEND
	;;#ASMSTART
	v_dot2_f32_f16 v36, v110, v126, v36
	;;#ASMEND
	;;#ASMSTART
	v_dot2_f32_f16 v36, v111, v127, v36
	;;#ASMEND
	;;#ASMSTART
	v_dot2_f32_f16 v35, v112, v104, v35
	;;#ASMEND
	;;#ASMSTART
	v_dot2_f32_f16 v35, v113, v105, v35
	;;#ASMEND
	;;#ASMSTART
	v_dot2_f32_f16 v35, v114, v106, v35
	;;#ASMEND
	;;#ASMSTART
	v_dot2_f32_f16 v35, v115, v107, v35
	;;#ASMEND
	;;#ASMSTART
	v_dot2_f32_f16 v37, v112, v124, v37
	;;#ASMEND
	;;#ASMSTART
	v_dot2_f32_f16 v37, v113, v125, v37
	;;#ASMEND
	;;#ASMSTART
	v_dot2_f32_f16 v37, v114, v126, v37
	;;#ASMEND
	;;#ASMSTART
	v_dot2_f32_f16 v37, v115, v127, v37
	;;#ASMEND
	;;#ASMSTART
	v_dot2_f32_f16 v38, v116, v104, v38
	;;#ASMEND
	;;#ASMSTART
	v_dot2_f32_f16 v38, v117, v105, v38
	;;#ASMEND
	;;#ASMSTART
	v_dot2_f32_f16 v38, v118, v106, v38
	;;#ASMEND
	;;#ASMSTART
	v_dot2_f32_f16 v38, v119, v107, v38
	;;#ASMEND
	;;#ASMSTART
	v_dot2_f32_f16 v39, v116, v124, v39
	;;#ASMEND
	;;#ASMSTART
	v_dot2_f32_f16 v39, v117, v125, v39
	;;#ASMEND
	;;#ASMSTART
	v_dot2_f32_f16 v39, v118, v126, v39
	;;#ASMEND
	;;#ASMSTART
	v_dot2_f32_f16 v39, v119, v127, v39
	;;#ASMEND
	;;#ASMSTART
	v_dot2_f32_f16 v40, v120, v104, v40
	;;#ASMEND
	;;#ASMSTART
	v_dot2_f32_f16 v40, v121, v105, v40
	;;#ASMEND
	;;#ASMSTART
	v_dot2_f32_f16 v40, v122, v106, v40
	;;#ASMEND
	;;#ASMSTART
	v_dot2_f32_f16 v40, v123, v107, v40
	;;#ASMEND
	;;#ASMSTART
	v_dot2_f32_f16 v41, v120, v124, v41
	;;#ASMEND
	;;#ASMSTART
	v_dot2_f32_f16 v41, v121, v125, v41
	;;#ASMEND
	;;#ASMSTART
	v_dot2_f32_f16 v41, v122, v126, v41
	;;#ASMEND
	;;#ASMSTART
	v_dot2_f32_f16 v41, v123, v127, v41
	;;#ASMEND
	s_barrier
	global_load_dwordx4 v[104:107], v[4:5], off offset:256
	global_load_dwordx4 v[108:111], v[2:3], off offset:256
	s_waitcnt vmcnt(1)
	ds_write_b128 v68, v[104:107]
	s_waitcnt vmcnt(0)
	ds_write_b128 v69, v[108:111]
	s_waitcnt lgkmcnt(0)
	s_barrier
	ds_read_b128 v[104:107], v71 offset:256
	ds_read_b128 v[108:111], v70
	ds_read_b128 v[112:115], v70 offset:4608
	ds_read_b128 v[116:119], v70 offset:9216
	;; [unrolled: 1-line block ×4, first 2 shown]
	s_waitcnt lgkmcnt(4)
	;;#ASMSTART
	v_dot2_f32_f16 v34, v108, v104, v34
	;;#ASMEND
	;;#ASMSTART
	v_dot2_f32_f16 v34, v109, v105, v34
	;;#ASMEND
	;; [unrolled: 3-line block ×4, first 2 shown]
	s_waitcnt lgkmcnt(0)
	;;#ASMSTART
	v_dot2_f32_f16 v36, v108, v124, v36
	;;#ASMEND
	;;#ASMSTART
	v_dot2_f32_f16 v36, v109, v125, v36
	;;#ASMEND
	;;#ASMSTART
	v_dot2_f32_f16 v36, v110, v126, v36
	;;#ASMEND
	;;#ASMSTART
	v_dot2_f32_f16 v36, v111, v127, v36
	;;#ASMEND
	;;#ASMSTART
	v_dot2_f32_f16 v35, v112, v104, v35
	;;#ASMEND
	;;#ASMSTART
	v_dot2_f32_f16 v35, v113, v105, v35
	;;#ASMEND
	;;#ASMSTART
	v_dot2_f32_f16 v35, v114, v106, v35
	;;#ASMEND
	;;#ASMSTART
	v_dot2_f32_f16 v35, v115, v107, v35
	;;#ASMEND
	;;#ASMSTART
	v_dot2_f32_f16 v37, v112, v124, v37
	;;#ASMEND
	;;#ASMSTART
	v_dot2_f32_f16 v37, v113, v125, v37
	;;#ASMEND
	;;#ASMSTART
	v_dot2_f32_f16 v37, v114, v126, v37
	;;#ASMEND
	;;#ASMSTART
	v_dot2_f32_f16 v37, v115, v127, v37
	;;#ASMEND
	;;#ASMSTART
	v_dot2_f32_f16 v38, v116, v104, v38
	;;#ASMEND
	;;#ASMSTART
	v_dot2_f32_f16 v38, v117, v105, v38
	;;#ASMEND
	;;#ASMSTART
	v_dot2_f32_f16 v38, v118, v106, v38
	;;#ASMEND
	;;#ASMSTART
	v_dot2_f32_f16 v38, v119, v107, v38
	;;#ASMEND
	;;#ASMSTART
	v_dot2_f32_f16 v39, v116, v124, v39
	;;#ASMEND
	;;#ASMSTART
	v_dot2_f32_f16 v39, v117, v125, v39
	;;#ASMEND
	;;#ASMSTART
	v_dot2_f32_f16 v39, v118, v126, v39
	;;#ASMEND
	;;#ASMSTART
	v_dot2_f32_f16 v39, v119, v127, v39
	;;#ASMEND
	;;#ASMSTART
	v_dot2_f32_f16 v40, v120, v104, v40
	;;#ASMEND
	;;#ASMSTART
	v_dot2_f32_f16 v40, v121, v105, v40
	;;#ASMEND
	;;#ASMSTART
	v_dot2_f32_f16 v40, v122, v106, v40
	;;#ASMEND
	;;#ASMSTART
	v_dot2_f32_f16 v40, v123, v107, v40
	;;#ASMEND
	;;#ASMSTART
	v_dot2_f32_f16 v41, v120, v124, v41
	;;#ASMEND
	;;#ASMSTART
	v_dot2_f32_f16 v41, v121, v125, v41
	;;#ASMEND
	;;#ASMSTART
	v_dot2_f32_f16 v41, v122, v126, v41
	;;#ASMEND
	;;#ASMSTART
	v_dot2_f32_f16 v41, v123, v127, v41
	;;#ASMEND
	ds_read_b128 v[104:107], v71 offset:272
	ds_read_b128 v[108:111], v70 offset:16
	;; [unrolled: 1-line block ×6, first 2 shown]
	s_waitcnt lgkmcnt(4)
	;;#ASMSTART
	v_dot2_f32_f16 v34, v108, v104, v34
	;;#ASMEND
	;;#ASMSTART
	v_dot2_f32_f16 v34, v109, v105, v34
	;;#ASMEND
	;; [unrolled: 3-line block ×4, first 2 shown]
	s_waitcnt lgkmcnt(0)
	;;#ASMSTART
	v_dot2_f32_f16 v36, v108, v124, v36
	;;#ASMEND
	;;#ASMSTART
	v_dot2_f32_f16 v36, v109, v125, v36
	;;#ASMEND
	;; [unrolled: 3-line block ×28, first 2 shown]
	ds_read_b128 v[104:107], v71 offset:288
	ds_read_b128 v[108:111], v70 offset:32
	ds_read_b128 v[112:115], v73 offset:4608
	ds_read_b128 v[116:119], v73 offset:9216
	ds_read_b128 v[120:123], v73 offset:13824
	ds_read_b128 v[124:127], v71 offset:1312
	s_waitcnt lgkmcnt(4)
	;;#ASMSTART
	v_dot2_f32_f16 v34, v108, v104, v34
	;;#ASMEND
	;;#ASMSTART
	v_dot2_f32_f16 v34, v109, v105, v34
	;;#ASMEND
	;; [unrolled: 3-line block ×4, first 2 shown]
	s_waitcnt lgkmcnt(0)
	;;#ASMSTART
	v_dot2_f32_f16 v36, v108, v124, v36
	;;#ASMEND
	;;#ASMSTART
	v_dot2_f32_f16 v36, v109, v125, v36
	;;#ASMEND
	;; [unrolled: 3-line block ×28, first 2 shown]
	ds_read_b128 v[104:107], v71 offset:304
	ds_read_b128 v[108:111], v70 offset:48
	;; [unrolled: 1-line block ×6, first 2 shown]
	s_waitcnt lgkmcnt(4)
	;;#ASMSTART
	v_dot2_f32_f16 v34, v108, v104, v34
	;;#ASMEND
	;;#ASMSTART
	v_dot2_f32_f16 v34, v109, v105, v34
	;;#ASMEND
	;; [unrolled: 3-line block ×4, first 2 shown]
	s_waitcnt lgkmcnt(0)
	;;#ASMSTART
	v_dot2_f32_f16 v36, v108, v124, v36
	;;#ASMEND
	;;#ASMSTART
	v_dot2_f32_f16 v36, v109, v125, v36
	;;#ASMEND
	;; [unrolled: 3-line block ×28, first 2 shown]
	ds_read_b128 v[104:107], v71 offset:320
	ds_read_b128 v[108:111], v70 offset:64
	;; [unrolled: 1-line block ×6, first 2 shown]
	s_waitcnt lgkmcnt(4)
	;;#ASMSTART
	v_dot2_f32_f16 v34, v108, v104, v34
	;;#ASMEND
	;;#ASMSTART
	v_dot2_f32_f16 v34, v109, v105, v34
	;;#ASMEND
	;; [unrolled: 3-line block ×4, first 2 shown]
	s_waitcnt lgkmcnt(0)
	;;#ASMSTART
	v_dot2_f32_f16 v36, v108, v124, v36
	;;#ASMEND
	;;#ASMSTART
	v_dot2_f32_f16 v36, v109, v125, v36
	;;#ASMEND
	;; [unrolled: 3-line block ×28, first 2 shown]
	ds_read_b128 v[104:107], v71 offset:336
	ds_read_b128 v[108:111], v70 offset:80
	;; [unrolled: 1-line block ×6, first 2 shown]
	s_waitcnt lgkmcnt(4)
	;;#ASMSTART
	v_dot2_f32_f16 v34, v108, v104, v34
	;;#ASMEND
	;;#ASMSTART
	v_dot2_f32_f16 v34, v109, v105, v34
	;;#ASMEND
	;; [unrolled: 3-line block ×4, first 2 shown]
	s_waitcnt lgkmcnt(0)
	;;#ASMSTART
	v_dot2_f32_f16 v36, v108, v124, v36
	;;#ASMEND
	;;#ASMSTART
	v_dot2_f32_f16 v36, v109, v125, v36
	;;#ASMEND
	;; [unrolled: 3-line block ×28, first 2 shown]
	ds_read_b128 v[104:107], v71 offset:352
	ds_read_b128 v[108:111], v70 offset:96
	;; [unrolled: 1-line block ×6, first 2 shown]
	s_waitcnt lgkmcnt(4)
	;;#ASMSTART
	v_dot2_f32_f16 v34, v108, v104, v34
	;;#ASMEND
	;;#ASMSTART
	v_dot2_f32_f16 v34, v109, v105, v34
	;;#ASMEND
	;; [unrolled: 3-line block ×4, first 2 shown]
	s_waitcnt lgkmcnt(0)
	;;#ASMSTART
	v_dot2_f32_f16 v36, v108, v124, v36
	;;#ASMEND
	;;#ASMSTART
	v_dot2_f32_f16 v36, v109, v125, v36
	;;#ASMEND
	;; [unrolled: 3-line block ×28, first 2 shown]
	ds_read_b128 v[104:107], v71 offset:368
	ds_read_b128 v[108:111], v70 offset:112
	;; [unrolled: 1-line block ×6, first 2 shown]
	s_waitcnt lgkmcnt(4)
	;;#ASMSTART
	v_dot2_f32_f16 v34, v108, v104, v34
	;;#ASMEND
	;;#ASMSTART
	v_dot2_f32_f16 v34, v109, v105, v34
	;;#ASMEND
	;; [unrolled: 3-line block ×4, first 2 shown]
	s_waitcnt lgkmcnt(0)
	;;#ASMSTART
	v_dot2_f32_f16 v36, v108, v124, v36
	;;#ASMEND
	;;#ASMSTART
	v_dot2_f32_f16 v36, v109, v125, v36
	;;#ASMEND
	;; [unrolled: 3-line block ×28, first 2 shown]
	s_barrier
	global_load_dwordx4 v[104:107], v[4:5], off offset:384
	global_load_dwordx4 v[108:111], v[2:3], off offset:384
	s_waitcnt vmcnt(1)
	ds_write_b128 v68, v[104:107]
	s_waitcnt vmcnt(0)
	ds_write_b128 v69, v[108:111]
	s_waitcnt lgkmcnt(0)
	s_barrier
	ds_read_b128 v[104:107], v71 offset:384
	ds_read_b128 v[108:111], v70
	ds_read_b128 v[112:115], v70 offset:4608
	ds_read_b128 v[116:119], v70 offset:9216
	;; [unrolled: 1-line block ×4, first 2 shown]
	s_waitcnt lgkmcnt(4)
	;;#ASMSTART
	v_dot2_f32_f16 v34, v108, v104, v34
	;;#ASMEND
	;;#ASMSTART
	v_dot2_f32_f16 v34, v109, v105, v34
	;;#ASMEND
	;;#ASMSTART
	v_dot2_f32_f16 v34, v110, v106, v34
	;;#ASMEND
	;;#ASMSTART
	v_dot2_f32_f16 v34, v111, v107, v34
	;;#ASMEND
	s_waitcnt lgkmcnt(0)
	;;#ASMSTART
	v_dot2_f32_f16 v36, v108, v124, v36
	;;#ASMEND
	;;#ASMSTART
	v_dot2_f32_f16 v36, v109, v125, v36
	;;#ASMEND
	;; [unrolled: 3-line block ×28, first 2 shown]
	ds_read_b128 v[104:107], v71 offset:400
	ds_read_b128 v[108:111], v70 offset:16
	;; [unrolled: 1-line block ×6, first 2 shown]
	s_waitcnt lgkmcnt(4)
	;;#ASMSTART
	v_dot2_f32_f16 v34, v108, v104, v34
	;;#ASMEND
	;;#ASMSTART
	v_dot2_f32_f16 v34, v109, v105, v34
	;;#ASMEND
	;; [unrolled: 3-line block ×4, first 2 shown]
	s_waitcnt lgkmcnt(0)
	;;#ASMSTART
	v_dot2_f32_f16 v36, v108, v124, v36
	;;#ASMEND
	;;#ASMSTART
	v_dot2_f32_f16 v36, v109, v125, v36
	;;#ASMEND
	;; [unrolled: 3-line block ×28, first 2 shown]
	ds_read_b128 v[104:107], v71 offset:416
	ds_read_b128 v[108:111], v70 offset:32
	;; [unrolled: 1-line block ×6, first 2 shown]
	s_waitcnt lgkmcnt(4)
	;;#ASMSTART
	v_dot2_f32_f16 v34, v108, v104, v34
	;;#ASMEND
	;;#ASMSTART
	v_dot2_f32_f16 v34, v109, v105, v34
	;;#ASMEND
	;; [unrolled: 3-line block ×4, first 2 shown]
	s_waitcnt lgkmcnt(0)
	;;#ASMSTART
	v_dot2_f32_f16 v36, v108, v124, v36
	;;#ASMEND
	;;#ASMSTART
	v_dot2_f32_f16 v36, v109, v125, v36
	;;#ASMEND
	;;#ASMSTART
	v_dot2_f32_f16 v36, v110, v126, v36
	;;#ASMEND
	;;#ASMSTART
	v_dot2_f32_f16 v36, v111, v127, v36
	;;#ASMEND
	;;#ASMSTART
	v_dot2_f32_f16 v35, v112, v104, v35
	;;#ASMEND
	;;#ASMSTART
	v_dot2_f32_f16 v35, v113, v105, v35
	;;#ASMEND
	;;#ASMSTART
	v_dot2_f32_f16 v35, v114, v106, v35
	;;#ASMEND
	;;#ASMSTART
	v_dot2_f32_f16 v35, v115, v107, v35
	;;#ASMEND
	;;#ASMSTART
	v_dot2_f32_f16 v37, v112, v124, v37
	;;#ASMEND
	;;#ASMSTART
	v_dot2_f32_f16 v37, v113, v125, v37
	;;#ASMEND
	;;#ASMSTART
	v_dot2_f32_f16 v37, v114, v126, v37
	;;#ASMEND
	;;#ASMSTART
	v_dot2_f32_f16 v37, v115, v127, v37
	;;#ASMEND
	;;#ASMSTART
	v_dot2_f32_f16 v38, v116, v104, v38
	;;#ASMEND
	;;#ASMSTART
	v_dot2_f32_f16 v38, v117, v105, v38
	;;#ASMEND
	;;#ASMSTART
	v_dot2_f32_f16 v38, v118, v106, v38
	;;#ASMEND
	;;#ASMSTART
	v_dot2_f32_f16 v38, v119, v107, v38
	;;#ASMEND
	;;#ASMSTART
	v_dot2_f32_f16 v39, v116, v124, v39
	;;#ASMEND
	;;#ASMSTART
	v_dot2_f32_f16 v39, v117, v125, v39
	;;#ASMEND
	;;#ASMSTART
	v_dot2_f32_f16 v39, v118, v126, v39
	;;#ASMEND
	;;#ASMSTART
	v_dot2_f32_f16 v39, v119, v127, v39
	;;#ASMEND
	;;#ASMSTART
	v_dot2_f32_f16 v40, v120, v104, v40
	;;#ASMEND
	;;#ASMSTART
	v_dot2_f32_f16 v40, v121, v105, v40
	;;#ASMEND
	;;#ASMSTART
	v_dot2_f32_f16 v40, v122, v106, v40
	;;#ASMEND
	;;#ASMSTART
	v_dot2_f32_f16 v40, v123, v107, v40
	;;#ASMEND
	;;#ASMSTART
	v_dot2_f32_f16 v41, v120, v124, v41
	;;#ASMEND
	;;#ASMSTART
	v_dot2_f32_f16 v41, v121, v125, v41
	;;#ASMEND
	;;#ASMSTART
	v_dot2_f32_f16 v41, v122, v126, v41
	;;#ASMEND
	;;#ASMSTART
	v_dot2_f32_f16 v41, v123, v127, v41
	;;#ASMEND
	ds_read_b128 v[104:107], v71 offset:432
	ds_read_b128 v[108:111], v70 offset:48
	ds_read_b128 v[112:115], v74 offset:4608
	ds_read_b128 v[116:119], v74 offset:9216
	ds_read_b128 v[120:123], v74 offset:13824
	ds_read_b128 v[124:127], v71 offset:1456
	s_waitcnt lgkmcnt(4)
	;;#ASMSTART
	v_dot2_f32_f16 v34, v108, v104, v34
	;;#ASMEND
	;;#ASMSTART
	v_dot2_f32_f16 v34, v109, v105, v34
	;;#ASMEND
	;;#ASMSTART
	v_dot2_f32_f16 v34, v110, v106, v34
	;;#ASMEND
	;;#ASMSTART
	v_dot2_f32_f16 v34, v111, v107, v34
	;;#ASMEND
	s_waitcnt lgkmcnt(0)
	;;#ASMSTART
	v_dot2_f32_f16 v36, v108, v124, v36
	;;#ASMEND
	;;#ASMSTART
	v_dot2_f32_f16 v36, v109, v125, v36
	;;#ASMEND
	;; [unrolled: 3-line block ×28, first 2 shown]
	ds_read_b128 v[104:107], v71 offset:448
	ds_read_b128 v[108:111], v70 offset:64
	;; [unrolled: 1-line block ×6, first 2 shown]
	s_waitcnt lgkmcnt(4)
	;;#ASMSTART
	v_dot2_f32_f16 v34, v108, v104, v34
	;;#ASMEND
	;;#ASMSTART
	v_dot2_f32_f16 v34, v109, v105, v34
	;;#ASMEND
	;; [unrolled: 3-line block ×4, first 2 shown]
	s_waitcnt lgkmcnt(0)
	;;#ASMSTART
	v_dot2_f32_f16 v36, v108, v124, v36
	;;#ASMEND
	;;#ASMSTART
	v_dot2_f32_f16 v36, v109, v125, v36
	;;#ASMEND
	;; [unrolled: 3-line block ×28, first 2 shown]
	ds_read_b128 v[104:107], v71 offset:464
	ds_read_b128 v[108:111], v70 offset:80
	;; [unrolled: 1-line block ×6, first 2 shown]
	s_waitcnt lgkmcnt(4)
	;;#ASMSTART
	v_dot2_f32_f16 v34, v108, v104, v34
	;;#ASMEND
	;;#ASMSTART
	v_dot2_f32_f16 v34, v109, v105, v34
	;;#ASMEND
	;; [unrolled: 3-line block ×4, first 2 shown]
	s_waitcnt lgkmcnt(0)
	;;#ASMSTART
	v_dot2_f32_f16 v36, v108, v124, v36
	;;#ASMEND
	;;#ASMSTART
	v_dot2_f32_f16 v36, v109, v125, v36
	;;#ASMEND
	;; [unrolled: 3-line block ×28, first 2 shown]
	ds_read_b128 v[104:107], v71 offset:480
	ds_read_b128 v[108:111], v70 offset:96
	;; [unrolled: 1-line block ×6, first 2 shown]
	s_waitcnt lgkmcnt(4)
	;;#ASMSTART
	v_dot2_f32_f16 v34, v108, v104, v34
	;;#ASMEND
	;;#ASMSTART
	v_dot2_f32_f16 v34, v109, v105, v34
	;;#ASMEND
	;; [unrolled: 3-line block ×4, first 2 shown]
	s_waitcnt lgkmcnt(0)
	;;#ASMSTART
	v_dot2_f32_f16 v36, v108, v124, v36
	;;#ASMEND
	;;#ASMSTART
	v_dot2_f32_f16 v36, v109, v125, v36
	;;#ASMEND
	;; [unrolled: 3-line block ×28, first 2 shown]
	ds_read_b128 v[104:107], v71 offset:496
	ds_read_b128 v[108:111], v70 offset:112
	;; [unrolled: 1-line block ×6, first 2 shown]
	s_waitcnt lgkmcnt(4)
	;;#ASMSTART
	v_dot2_f32_f16 v34, v108, v104, v34
	;;#ASMEND
	;;#ASMSTART
	v_dot2_f32_f16 v34, v109, v105, v34
	;;#ASMEND
	;; [unrolled: 3-line block ×4, first 2 shown]
	s_waitcnt lgkmcnt(0)
	;;#ASMSTART
	v_dot2_f32_f16 v36, v108, v124, v36
	;;#ASMEND
	;;#ASMSTART
	v_dot2_f32_f16 v36, v109, v125, v36
	;;#ASMEND
	;; [unrolled: 3-line block ×28, first 2 shown]
	s_barrier
	global_load_dwordx4 v[104:107], v[4:5], off offset:512
	global_load_dwordx4 v[108:111], v[2:3], off offset:512
	s_waitcnt vmcnt(1)
	ds_write_b128 v68, v[104:107]
	s_waitcnt vmcnt(0)
	ds_write_b128 v69, v[108:111]
	s_waitcnt lgkmcnt(0)
	s_barrier
	ds_read_b128 v[104:107], v71 offset:512
	ds_read_b128 v[108:111], v70
	ds_read_b128 v[112:115], v70 offset:4608
	ds_read_b128 v[116:119], v70 offset:9216
	ds_read_b128 v[120:123], v70 offset:13824
	ds_read_b128 v[124:127], v71 offset:1536
	s_waitcnt lgkmcnt(4)
	;;#ASMSTART
	v_dot2_f32_f16 v34, v108, v104, v34
	;;#ASMEND
	;;#ASMSTART
	v_dot2_f32_f16 v34, v109, v105, v34
	;;#ASMEND
	;; [unrolled: 3-line block ×4, first 2 shown]
	s_waitcnt lgkmcnt(0)
	;;#ASMSTART
	v_dot2_f32_f16 v36, v108, v124, v36
	;;#ASMEND
	;;#ASMSTART
	v_dot2_f32_f16 v36, v109, v125, v36
	;;#ASMEND
	;; [unrolled: 3-line block ×28, first 2 shown]
	ds_read_b128 v[104:107], v71 offset:528
	ds_read_b128 v[108:111], v70 offset:16
	;; [unrolled: 1-line block ×6, first 2 shown]
	s_waitcnt lgkmcnt(4)
	;;#ASMSTART
	v_dot2_f32_f16 v34, v108, v104, v34
	;;#ASMEND
	;;#ASMSTART
	v_dot2_f32_f16 v34, v109, v105, v34
	;;#ASMEND
	;; [unrolled: 3-line block ×4, first 2 shown]
	s_waitcnt lgkmcnt(0)
	;;#ASMSTART
	v_dot2_f32_f16 v36, v108, v124, v36
	;;#ASMEND
	;;#ASMSTART
	v_dot2_f32_f16 v36, v109, v125, v36
	;;#ASMEND
	;; [unrolled: 3-line block ×28, first 2 shown]
	ds_read_b128 v[104:107], v71 offset:544
	ds_read_b128 v[108:111], v70 offset:32
	;; [unrolled: 1-line block ×6, first 2 shown]
	s_waitcnt lgkmcnt(4)
	;;#ASMSTART
	v_dot2_f32_f16 v34, v108, v104, v34
	;;#ASMEND
	;;#ASMSTART
	v_dot2_f32_f16 v34, v109, v105, v34
	;;#ASMEND
	;; [unrolled: 3-line block ×4, first 2 shown]
	s_waitcnt lgkmcnt(0)
	;;#ASMSTART
	v_dot2_f32_f16 v36, v108, v124, v36
	;;#ASMEND
	;;#ASMSTART
	v_dot2_f32_f16 v36, v109, v125, v36
	;;#ASMEND
	;; [unrolled: 3-line block ×28, first 2 shown]
	ds_read_b128 v[104:107], v71 offset:560
	ds_read_b128 v[108:111], v70 offset:48
	;; [unrolled: 1-line block ×6, first 2 shown]
	s_waitcnt lgkmcnt(4)
	;;#ASMSTART
	v_dot2_f32_f16 v34, v108, v104, v34
	;;#ASMEND
	;;#ASMSTART
	v_dot2_f32_f16 v34, v109, v105, v34
	;;#ASMEND
	;; [unrolled: 3-line block ×4, first 2 shown]
	s_waitcnt lgkmcnt(0)
	;;#ASMSTART
	v_dot2_f32_f16 v36, v108, v124, v36
	;;#ASMEND
	;;#ASMSTART
	v_dot2_f32_f16 v36, v109, v125, v36
	;;#ASMEND
	;; [unrolled: 3-line block ×28, first 2 shown]
	ds_read_b128 v[104:107], v71 offset:576
	ds_read_b128 v[108:111], v70 offset:64
	;; [unrolled: 1-line block ×6, first 2 shown]
	s_waitcnt lgkmcnt(4)
	;;#ASMSTART
	v_dot2_f32_f16 v34, v108, v104, v34
	;;#ASMEND
	;;#ASMSTART
	v_dot2_f32_f16 v34, v109, v105, v34
	;;#ASMEND
	;; [unrolled: 3-line block ×4, first 2 shown]
	s_waitcnt lgkmcnt(0)
	;;#ASMSTART
	v_dot2_f32_f16 v36, v108, v124, v36
	;;#ASMEND
	;;#ASMSTART
	v_dot2_f32_f16 v36, v109, v125, v36
	;;#ASMEND
	;; [unrolled: 3-line block ×28, first 2 shown]
	ds_read_b128 v[104:107], v71 offset:592
	ds_read_b128 v[108:111], v70 offset:80
	;; [unrolled: 1-line block ×6, first 2 shown]
	s_waitcnt lgkmcnt(4)
	;;#ASMSTART
	v_dot2_f32_f16 v34, v108, v104, v34
	;;#ASMEND
	;;#ASMSTART
	v_dot2_f32_f16 v34, v109, v105, v34
	;;#ASMEND
	;;#ASMSTART
	v_dot2_f32_f16 v34, v110, v106, v34
	;;#ASMEND
	;;#ASMSTART
	v_dot2_f32_f16 v34, v111, v107, v34
	;;#ASMEND
	s_waitcnt lgkmcnt(0)
	;;#ASMSTART
	v_dot2_f32_f16 v36, v108, v124, v36
	;;#ASMEND
	;;#ASMSTART
	v_dot2_f32_f16 v36, v109, v125, v36
	;;#ASMEND
	;; [unrolled: 3-line block ×28, first 2 shown]
	ds_read_b128 v[104:107], v71 offset:608
	ds_read_b128 v[108:111], v70 offset:96
	;; [unrolled: 1-line block ×6, first 2 shown]
	s_waitcnt lgkmcnt(4)
	;;#ASMSTART
	v_dot2_f32_f16 v34, v108, v104, v34
	;;#ASMEND
	;;#ASMSTART
	v_dot2_f32_f16 v34, v109, v105, v34
	;;#ASMEND
	;; [unrolled: 3-line block ×4, first 2 shown]
	s_waitcnt lgkmcnt(0)
	;;#ASMSTART
	v_dot2_f32_f16 v36, v108, v124, v36
	;;#ASMEND
	;;#ASMSTART
	v_dot2_f32_f16 v36, v109, v125, v36
	;;#ASMEND
	;; [unrolled: 3-line block ×28, first 2 shown]
	ds_read_b128 v[104:107], v71 offset:624
	ds_read_b128 v[108:111], v70 offset:112
	;; [unrolled: 1-line block ×6, first 2 shown]
	s_waitcnt lgkmcnt(4)
	;;#ASMSTART
	v_dot2_f32_f16 v34, v108, v104, v34
	;;#ASMEND
	;;#ASMSTART
	v_dot2_f32_f16 v34, v109, v105, v34
	;;#ASMEND
	;; [unrolled: 3-line block ×4, first 2 shown]
	s_waitcnt lgkmcnt(0)
	;;#ASMSTART
	v_dot2_f32_f16 v36, v108, v124, v36
	;;#ASMEND
	;;#ASMSTART
	v_dot2_f32_f16 v36, v109, v125, v36
	;;#ASMEND
	;; [unrolled: 3-line block ×28, first 2 shown]
	s_barrier
	global_load_dwordx4 v[104:107], v[4:5], off offset:640
	global_load_dwordx4 v[108:111], v[2:3], off offset:640
	s_waitcnt vmcnt(1)
	ds_write_b128 v68, v[104:107]
	s_waitcnt vmcnt(0)
	ds_write_b128 v69, v[108:111]
	s_waitcnt lgkmcnt(0)
	s_barrier
	ds_read_b128 v[104:107], v71 offset:640
	ds_read_b128 v[108:111], v70
	ds_read_b128 v[112:115], v70 offset:4608
	ds_read_b128 v[116:119], v70 offset:9216
	;; [unrolled: 1-line block ×4, first 2 shown]
	s_waitcnt lgkmcnt(4)
	;;#ASMSTART
	v_dot2_f32_f16 v34, v108, v104, v34
	;;#ASMEND
	;;#ASMSTART
	v_dot2_f32_f16 v34, v109, v105, v34
	;;#ASMEND
	;; [unrolled: 3-line block ×4, first 2 shown]
	s_waitcnt lgkmcnt(0)
	;;#ASMSTART
	v_dot2_f32_f16 v36, v108, v124, v36
	;;#ASMEND
	;;#ASMSTART
	v_dot2_f32_f16 v36, v109, v125, v36
	;;#ASMEND
	;; [unrolled: 3-line block ×28, first 2 shown]
	ds_read_b128 v[104:107], v71 offset:656
	ds_read_b128 v[108:111], v70 offset:16
	;; [unrolled: 1-line block ×6, first 2 shown]
	s_waitcnt lgkmcnt(4)
	;;#ASMSTART
	v_dot2_f32_f16 v34, v108, v104, v34
	;;#ASMEND
	;;#ASMSTART
	v_dot2_f32_f16 v34, v109, v105, v34
	;;#ASMEND
	;; [unrolled: 3-line block ×4, first 2 shown]
	s_waitcnt lgkmcnt(0)
	;;#ASMSTART
	v_dot2_f32_f16 v36, v108, v124, v36
	;;#ASMEND
	;;#ASMSTART
	v_dot2_f32_f16 v36, v109, v125, v36
	;;#ASMEND
	;; [unrolled: 3-line block ×28, first 2 shown]
	ds_read_b128 v[104:107], v71 offset:672
	ds_read_b128 v[108:111], v70 offset:32
	;; [unrolled: 1-line block ×6, first 2 shown]
	s_waitcnt lgkmcnt(4)
	;;#ASMSTART
	v_dot2_f32_f16 v34, v108, v104, v34
	;;#ASMEND
	;;#ASMSTART
	v_dot2_f32_f16 v34, v109, v105, v34
	;;#ASMEND
	;; [unrolled: 3-line block ×4, first 2 shown]
	s_waitcnt lgkmcnt(0)
	;;#ASMSTART
	v_dot2_f32_f16 v36, v108, v124, v36
	;;#ASMEND
	;;#ASMSTART
	v_dot2_f32_f16 v36, v109, v125, v36
	;;#ASMEND
	;; [unrolled: 3-line block ×28, first 2 shown]
	ds_read_b128 v[104:107], v71 offset:688
	ds_read_b128 v[108:111], v70 offset:48
	;; [unrolled: 1-line block ×6, first 2 shown]
	s_waitcnt lgkmcnt(4)
	;;#ASMSTART
	v_dot2_f32_f16 v34, v108, v104, v34
	;;#ASMEND
	;;#ASMSTART
	v_dot2_f32_f16 v34, v109, v105, v34
	;;#ASMEND
	;;#ASMSTART
	v_dot2_f32_f16 v34, v110, v106, v34
	;;#ASMEND
	;;#ASMSTART
	v_dot2_f32_f16 v34, v111, v107, v34
	;;#ASMEND
	s_waitcnt lgkmcnt(0)
	;;#ASMSTART
	v_dot2_f32_f16 v36, v108, v124, v36
	;;#ASMEND
	;;#ASMSTART
	v_dot2_f32_f16 v36, v109, v125, v36
	;;#ASMEND
	;; [unrolled: 3-line block ×28, first 2 shown]
	ds_read_b128 v[104:107], v71 offset:704
	ds_read_b128 v[108:111], v70 offset:64
	;; [unrolled: 1-line block ×6, first 2 shown]
	s_waitcnt lgkmcnt(4)
	;;#ASMSTART
	v_dot2_f32_f16 v34, v108, v104, v34
	;;#ASMEND
	;;#ASMSTART
	v_dot2_f32_f16 v34, v109, v105, v34
	;;#ASMEND
	;; [unrolled: 3-line block ×4, first 2 shown]
	s_waitcnt lgkmcnt(0)
	;;#ASMSTART
	v_dot2_f32_f16 v36, v108, v124, v36
	;;#ASMEND
	;;#ASMSTART
	v_dot2_f32_f16 v36, v109, v125, v36
	;;#ASMEND
	;; [unrolled: 3-line block ×28, first 2 shown]
	ds_read_b128 v[104:107], v71 offset:720
	ds_read_b128 v[108:111], v70 offset:80
	;; [unrolled: 1-line block ×6, first 2 shown]
	s_waitcnt lgkmcnt(4)
	;;#ASMSTART
	v_dot2_f32_f16 v34, v108, v104, v34
	;;#ASMEND
	;;#ASMSTART
	v_dot2_f32_f16 v34, v109, v105, v34
	;;#ASMEND
	;; [unrolled: 3-line block ×4, first 2 shown]
	s_waitcnt lgkmcnt(0)
	;;#ASMSTART
	v_dot2_f32_f16 v36, v108, v124, v36
	;;#ASMEND
	;;#ASMSTART
	v_dot2_f32_f16 v36, v109, v125, v36
	;;#ASMEND
	;; [unrolled: 3-line block ×28, first 2 shown]
	ds_read_b128 v[104:107], v71 offset:736
	ds_read_b128 v[108:111], v70 offset:96
	ds_read_b128 v[112:115], v77 offset:4608
	ds_read_b128 v[116:119], v77 offset:9216
	ds_read_b128 v[120:123], v77 offset:13824
	ds_read_b128 v[124:127], v71 offset:1760
	s_waitcnt lgkmcnt(4)
	;;#ASMSTART
	v_dot2_f32_f16 v34, v108, v104, v34
	;;#ASMEND
	;;#ASMSTART
	v_dot2_f32_f16 v34, v109, v105, v34
	;;#ASMEND
	;; [unrolled: 3-line block ×4, first 2 shown]
	s_waitcnt lgkmcnt(0)
	;;#ASMSTART
	v_dot2_f32_f16 v36, v108, v124, v36
	;;#ASMEND
	;;#ASMSTART
	v_dot2_f32_f16 v36, v109, v125, v36
	;;#ASMEND
	;; [unrolled: 3-line block ×28, first 2 shown]
	ds_read_b128 v[104:107], v71 offset:752
	ds_read_b128 v[108:111], v70 offset:112
	;; [unrolled: 1-line block ×6, first 2 shown]
	s_waitcnt lgkmcnt(4)
	;;#ASMSTART
	v_dot2_f32_f16 v34, v108, v104, v34
	;;#ASMEND
	;;#ASMSTART
	v_dot2_f32_f16 v34, v109, v105, v34
	;;#ASMEND
	;;#ASMSTART
	v_dot2_f32_f16 v34, v110, v106, v34
	;;#ASMEND
	;;#ASMSTART
	v_dot2_f32_f16 v34, v111, v107, v34
	;;#ASMEND
	s_waitcnt lgkmcnt(0)
	;;#ASMSTART
	v_dot2_f32_f16 v36, v108, v124, v36
	;;#ASMEND
	;;#ASMSTART
	v_dot2_f32_f16 v36, v109, v125, v36
	;;#ASMEND
	;; [unrolled: 3-line block ×28, first 2 shown]
	s_barrier
	global_load_dwordx4 v[104:107], v[4:5], off offset:768
	global_load_dwordx4 v[108:111], v[2:3], off offset:768
	s_waitcnt vmcnt(1)
	ds_write_b128 v68, v[104:107]
	s_waitcnt vmcnt(0)
	ds_write_b128 v69, v[108:111]
	s_waitcnt lgkmcnt(0)
	s_barrier
	ds_read_b128 v[104:107], v71 offset:768
	ds_read_b128 v[108:111], v70
	ds_read_b128 v[112:115], v70 offset:4608
	ds_read_b128 v[116:119], v70 offset:9216
	;; [unrolled: 1-line block ×4, first 2 shown]
	s_waitcnt lgkmcnt(4)
	;;#ASMSTART
	v_dot2_f32_f16 v34, v108, v104, v34
	;;#ASMEND
	;;#ASMSTART
	v_dot2_f32_f16 v34, v109, v105, v34
	;;#ASMEND
	;;#ASMSTART
	v_dot2_f32_f16 v34, v110, v106, v34
	;;#ASMEND
	;;#ASMSTART
	v_dot2_f32_f16 v34, v111, v107, v34
	;;#ASMEND
	s_waitcnt lgkmcnt(0)
	;;#ASMSTART
	v_dot2_f32_f16 v36, v108, v124, v36
	;;#ASMEND
	;;#ASMSTART
	v_dot2_f32_f16 v36, v109, v125, v36
	;;#ASMEND
	;; [unrolled: 3-line block ×28, first 2 shown]
	ds_read_b128 v[104:107], v71 offset:784
	ds_read_b128 v[108:111], v70 offset:16
	;; [unrolled: 1-line block ×6, first 2 shown]
	s_waitcnt lgkmcnt(4)
	;;#ASMSTART
	v_dot2_f32_f16 v34, v108, v104, v34
	;;#ASMEND
	;;#ASMSTART
	v_dot2_f32_f16 v34, v109, v105, v34
	;;#ASMEND
	;; [unrolled: 3-line block ×4, first 2 shown]
	s_waitcnt lgkmcnt(0)
	;;#ASMSTART
	v_dot2_f32_f16 v36, v108, v124, v36
	;;#ASMEND
	;;#ASMSTART
	v_dot2_f32_f16 v36, v109, v125, v36
	;;#ASMEND
	;;#ASMSTART
	v_dot2_f32_f16 v36, v110, v126, v36
	;;#ASMEND
	;;#ASMSTART
	v_dot2_f32_f16 v36, v111, v127, v36
	;;#ASMEND
	;;#ASMSTART
	v_dot2_f32_f16 v35, v112, v104, v35
	;;#ASMEND
	;;#ASMSTART
	v_dot2_f32_f16 v35, v113, v105, v35
	;;#ASMEND
	;;#ASMSTART
	v_dot2_f32_f16 v35, v114, v106, v35
	;;#ASMEND
	;;#ASMSTART
	v_dot2_f32_f16 v35, v115, v107, v35
	;;#ASMEND
	;;#ASMSTART
	v_dot2_f32_f16 v37, v112, v124, v37
	;;#ASMEND
	;;#ASMSTART
	v_dot2_f32_f16 v37, v113, v125, v37
	;;#ASMEND
	;;#ASMSTART
	v_dot2_f32_f16 v37, v114, v126, v37
	;;#ASMEND
	;;#ASMSTART
	v_dot2_f32_f16 v37, v115, v127, v37
	;;#ASMEND
	;;#ASMSTART
	v_dot2_f32_f16 v38, v116, v104, v38
	;;#ASMEND
	;;#ASMSTART
	v_dot2_f32_f16 v38, v117, v105, v38
	;;#ASMEND
	;;#ASMSTART
	v_dot2_f32_f16 v38, v118, v106, v38
	;;#ASMEND
	;;#ASMSTART
	v_dot2_f32_f16 v38, v119, v107, v38
	;;#ASMEND
	;;#ASMSTART
	v_dot2_f32_f16 v39, v116, v124, v39
	;;#ASMEND
	;;#ASMSTART
	v_dot2_f32_f16 v39, v117, v125, v39
	;;#ASMEND
	;;#ASMSTART
	v_dot2_f32_f16 v39, v118, v126, v39
	;;#ASMEND
	;;#ASMSTART
	v_dot2_f32_f16 v39, v119, v127, v39
	;;#ASMEND
	;;#ASMSTART
	v_dot2_f32_f16 v40, v120, v104, v40
	;;#ASMEND
	;;#ASMSTART
	v_dot2_f32_f16 v40, v121, v105, v40
	;;#ASMEND
	;;#ASMSTART
	v_dot2_f32_f16 v40, v122, v106, v40
	;;#ASMEND
	;;#ASMSTART
	v_dot2_f32_f16 v40, v123, v107, v40
	;;#ASMEND
	;;#ASMSTART
	v_dot2_f32_f16 v41, v120, v124, v41
	;;#ASMEND
	;;#ASMSTART
	v_dot2_f32_f16 v41, v121, v125, v41
	;;#ASMEND
	;;#ASMSTART
	v_dot2_f32_f16 v41, v122, v126, v41
	;;#ASMEND
	;;#ASMSTART
	v_dot2_f32_f16 v41, v123, v127, v41
	;;#ASMEND
	ds_read_b128 v[104:107], v71 offset:800
	ds_read_b128 v[108:111], v70 offset:32
	;; [unrolled: 1-line block ×6, first 2 shown]
	s_waitcnt lgkmcnt(4)
	;;#ASMSTART
	v_dot2_f32_f16 v34, v108, v104, v34
	;;#ASMEND
	;;#ASMSTART
	v_dot2_f32_f16 v34, v109, v105, v34
	;;#ASMEND
	;; [unrolled: 3-line block ×4, first 2 shown]
	s_waitcnt lgkmcnt(0)
	;;#ASMSTART
	v_dot2_f32_f16 v36, v108, v124, v36
	;;#ASMEND
	;;#ASMSTART
	v_dot2_f32_f16 v36, v109, v125, v36
	;;#ASMEND
	;; [unrolled: 3-line block ×28, first 2 shown]
	ds_read_b128 v[104:107], v71 offset:816
	ds_read_b128 v[108:111], v70 offset:48
	;; [unrolled: 1-line block ×6, first 2 shown]
	s_waitcnt lgkmcnt(4)
	;;#ASMSTART
	v_dot2_f32_f16 v34, v108, v104, v34
	;;#ASMEND
	;;#ASMSTART
	v_dot2_f32_f16 v34, v109, v105, v34
	;;#ASMEND
	;; [unrolled: 3-line block ×4, first 2 shown]
	s_waitcnt lgkmcnt(0)
	;;#ASMSTART
	v_dot2_f32_f16 v36, v108, v124, v36
	;;#ASMEND
	;;#ASMSTART
	v_dot2_f32_f16 v36, v109, v125, v36
	;;#ASMEND
	;;#ASMSTART
	v_dot2_f32_f16 v36, v110, v126, v36
	;;#ASMEND
	;;#ASMSTART
	v_dot2_f32_f16 v36, v111, v127, v36
	;;#ASMEND
	;;#ASMSTART
	v_dot2_f32_f16 v35, v112, v104, v35
	;;#ASMEND
	;;#ASMSTART
	v_dot2_f32_f16 v35, v113, v105, v35
	;;#ASMEND
	;;#ASMSTART
	v_dot2_f32_f16 v35, v114, v106, v35
	;;#ASMEND
	;;#ASMSTART
	v_dot2_f32_f16 v35, v115, v107, v35
	;;#ASMEND
	;;#ASMSTART
	v_dot2_f32_f16 v37, v112, v124, v37
	;;#ASMEND
	;;#ASMSTART
	v_dot2_f32_f16 v37, v113, v125, v37
	;;#ASMEND
	;;#ASMSTART
	v_dot2_f32_f16 v37, v114, v126, v37
	;;#ASMEND
	;;#ASMSTART
	v_dot2_f32_f16 v37, v115, v127, v37
	;;#ASMEND
	;;#ASMSTART
	v_dot2_f32_f16 v38, v116, v104, v38
	;;#ASMEND
	;;#ASMSTART
	v_dot2_f32_f16 v38, v117, v105, v38
	;;#ASMEND
	;;#ASMSTART
	v_dot2_f32_f16 v38, v118, v106, v38
	;;#ASMEND
	;;#ASMSTART
	v_dot2_f32_f16 v38, v119, v107, v38
	;;#ASMEND
	;;#ASMSTART
	v_dot2_f32_f16 v39, v116, v124, v39
	;;#ASMEND
	;;#ASMSTART
	v_dot2_f32_f16 v39, v117, v125, v39
	;;#ASMEND
	;;#ASMSTART
	v_dot2_f32_f16 v39, v118, v126, v39
	;;#ASMEND
	;;#ASMSTART
	v_dot2_f32_f16 v39, v119, v127, v39
	;;#ASMEND
	;;#ASMSTART
	v_dot2_f32_f16 v40, v120, v104, v40
	;;#ASMEND
	;;#ASMSTART
	v_dot2_f32_f16 v40, v121, v105, v40
	;;#ASMEND
	;;#ASMSTART
	v_dot2_f32_f16 v40, v122, v106, v40
	;;#ASMEND
	;;#ASMSTART
	v_dot2_f32_f16 v40, v123, v107, v40
	;;#ASMEND
	;;#ASMSTART
	v_dot2_f32_f16 v41, v120, v124, v41
	;;#ASMEND
	;;#ASMSTART
	v_dot2_f32_f16 v41, v121, v125, v41
	;;#ASMEND
	;;#ASMSTART
	v_dot2_f32_f16 v41, v122, v126, v41
	;;#ASMEND
	;;#ASMSTART
	v_dot2_f32_f16 v41, v123, v127, v41
	;;#ASMEND
	ds_read_b128 v[104:107], v71 offset:832
	ds_read_b128 v[108:111], v70 offset:64
	;; [unrolled: 1-line block ×6, first 2 shown]
	s_waitcnt lgkmcnt(4)
	;;#ASMSTART
	v_dot2_f32_f16 v34, v108, v104, v34
	;;#ASMEND
	;;#ASMSTART
	v_dot2_f32_f16 v34, v109, v105, v34
	;;#ASMEND
	;; [unrolled: 3-line block ×4, first 2 shown]
	s_waitcnt lgkmcnt(0)
	;;#ASMSTART
	v_dot2_f32_f16 v36, v108, v124, v36
	;;#ASMEND
	;;#ASMSTART
	v_dot2_f32_f16 v36, v109, v125, v36
	;;#ASMEND
	;; [unrolled: 3-line block ×28, first 2 shown]
	ds_read_b128 v[104:107], v71 offset:848
	ds_read_b128 v[108:111], v70 offset:80
	;; [unrolled: 1-line block ×6, first 2 shown]
	s_waitcnt lgkmcnt(4)
	;;#ASMSTART
	v_dot2_f32_f16 v34, v108, v104, v34
	;;#ASMEND
	;;#ASMSTART
	v_dot2_f32_f16 v34, v109, v105, v34
	;;#ASMEND
	;; [unrolled: 3-line block ×4, first 2 shown]
	s_waitcnt lgkmcnt(0)
	;;#ASMSTART
	v_dot2_f32_f16 v36, v108, v124, v36
	;;#ASMEND
	;;#ASMSTART
	v_dot2_f32_f16 v36, v109, v125, v36
	;;#ASMEND
	;; [unrolled: 3-line block ×28, first 2 shown]
	ds_read_b128 v[104:107], v71 offset:864
	ds_read_b128 v[108:111], v70 offset:96
	;; [unrolled: 1-line block ×6, first 2 shown]
	s_waitcnt lgkmcnt(4)
	;;#ASMSTART
	v_dot2_f32_f16 v34, v108, v104, v34
	;;#ASMEND
	;;#ASMSTART
	v_dot2_f32_f16 v34, v109, v105, v34
	;;#ASMEND
	;; [unrolled: 3-line block ×4, first 2 shown]
	s_waitcnt lgkmcnt(0)
	;;#ASMSTART
	v_dot2_f32_f16 v36, v108, v124, v36
	;;#ASMEND
	;;#ASMSTART
	v_dot2_f32_f16 v36, v109, v125, v36
	;;#ASMEND
	;; [unrolled: 3-line block ×28, first 2 shown]
	ds_read_b128 v[104:107], v71 offset:880
	ds_read_b128 v[108:111], v70 offset:112
	;; [unrolled: 1-line block ×6, first 2 shown]
	s_waitcnt lgkmcnt(4)
	;;#ASMSTART
	v_dot2_f32_f16 v34, v108, v104, v34
	;;#ASMEND
	;;#ASMSTART
	v_dot2_f32_f16 v34, v109, v105, v34
	;;#ASMEND
	;; [unrolled: 3-line block ×4, first 2 shown]
	s_waitcnt lgkmcnt(0)
	;;#ASMSTART
	v_dot2_f32_f16 v36, v108, v124, v36
	;;#ASMEND
	;;#ASMSTART
	v_dot2_f32_f16 v36, v109, v125, v36
	;;#ASMEND
	;; [unrolled: 3-line block ×28, first 2 shown]
	s_barrier
	global_load_dwordx4 v[104:107], v[4:5], off offset:896
	global_load_dwordx4 v[108:111], v[2:3], off offset:896
	s_waitcnt vmcnt(1)
	ds_write_b128 v68, v[104:107]
	s_waitcnt vmcnt(0)
	ds_write_b128 v69, v[108:111]
	s_waitcnt lgkmcnt(0)
	s_barrier
	ds_read_b128 v[2:5], v71 offset:896
	ds_read_b128 v[104:107], v70
	ds_read_b128 v[108:111], v70 offset:4608
	ds_read_b128 v[112:115], v70 offset:9216
	;; [unrolled: 1-line block ×4, first 2 shown]
	s_waitcnt lgkmcnt(4)
	;;#ASMSTART
	v_dot2_f32_f16 v34, v104, v2, v34
	;;#ASMEND
	;;#ASMSTART
	v_dot2_f32_f16 v34, v105, v3, v34
	;;#ASMEND
	;; [unrolled: 3-line block ×4, first 2 shown]
	s_waitcnt lgkmcnt(0)
	;;#ASMSTART
	v_dot2_f32_f16 v36, v104, v120, v36
	;;#ASMEND
	;;#ASMSTART
	v_dot2_f32_f16 v36, v105, v121, v36
	;;#ASMEND
	;; [unrolled: 3-line block ×28, first 2 shown]
	ds_read_b128 v[2:5], v71 offset:912
	ds_read_b128 v[104:107], v70 offset:16
	;; [unrolled: 1-line block ×6, first 2 shown]
	s_waitcnt lgkmcnt(4)
	;;#ASMSTART
	v_dot2_f32_f16 v34, v104, v2, v34
	;;#ASMEND
	;;#ASMSTART
	v_dot2_f32_f16 v34, v105, v3, v34
	;;#ASMEND
	;; [unrolled: 3-line block ×4, first 2 shown]
	s_waitcnt lgkmcnt(0)
	;;#ASMSTART
	v_dot2_f32_f16 v36, v104, v120, v36
	;;#ASMEND
	;;#ASMSTART
	v_dot2_f32_f16 v36, v105, v121, v36
	;;#ASMEND
	;; [unrolled: 3-line block ×28, first 2 shown]
	ds_read_b128 v[2:5], v71 offset:928
	ds_read_b128 v[104:107], v70 offset:32
	;; [unrolled: 1-line block ×6, first 2 shown]
	s_waitcnt lgkmcnt(4)
	;;#ASMSTART
	v_dot2_f32_f16 v34, v104, v2, v34
	;;#ASMEND
	;;#ASMSTART
	v_dot2_f32_f16 v34, v105, v3, v34
	;;#ASMEND
	;; [unrolled: 3-line block ×4, first 2 shown]
	s_waitcnt lgkmcnt(0)
	;;#ASMSTART
	v_dot2_f32_f16 v36, v104, v120, v36
	;;#ASMEND
	;;#ASMSTART
	v_dot2_f32_f16 v36, v105, v121, v36
	;;#ASMEND
	;;#ASMSTART
	v_dot2_f32_f16 v36, v106, v122, v36
	;;#ASMEND
	;;#ASMSTART
	v_dot2_f32_f16 v36, v107, v123, v36
	;;#ASMEND
	;;#ASMSTART
	v_dot2_f32_f16 v35, v108, v2, v35
	;;#ASMEND
	;;#ASMSTART
	v_dot2_f32_f16 v35, v109, v3, v35
	;;#ASMEND
	;;#ASMSTART
	v_dot2_f32_f16 v35, v110, v4, v35
	;;#ASMEND
	;;#ASMSTART
	v_dot2_f32_f16 v35, v111, v5, v35
	;;#ASMEND
	;;#ASMSTART
	v_dot2_f32_f16 v37, v108, v120, v37
	;;#ASMEND
	;;#ASMSTART
	v_dot2_f32_f16 v37, v109, v121, v37
	;;#ASMEND
	;;#ASMSTART
	v_dot2_f32_f16 v37, v110, v122, v37
	;;#ASMEND
	;;#ASMSTART
	v_dot2_f32_f16 v37, v111, v123, v37
	;;#ASMEND
	;;#ASMSTART
	v_dot2_f32_f16 v38, v112, v2, v38
	;;#ASMEND
	;;#ASMSTART
	v_dot2_f32_f16 v38, v113, v3, v38
	;;#ASMEND
	;;#ASMSTART
	v_dot2_f32_f16 v38, v114, v4, v38
	;;#ASMEND
	;;#ASMSTART
	v_dot2_f32_f16 v38, v115, v5, v38
	;;#ASMEND
	;;#ASMSTART
	v_dot2_f32_f16 v39, v112, v120, v39
	;;#ASMEND
	;;#ASMSTART
	v_dot2_f32_f16 v39, v113, v121, v39
	;;#ASMEND
	;;#ASMSTART
	v_dot2_f32_f16 v39, v114, v122, v39
	;;#ASMEND
	;;#ASMSTART
	v_dot2_f32_f16 v39, v115, v123, v39
	;;#ASMEND
	;;#ASMSTART
	v_dot2_f32_f16 v40, v116, v2, v40
	;;#ASMEND
	;;#ASMSTART
	v_dot2_f32_f16 v40, v117, v3, v40
	;;#ASMEND
	;;#ASMSTART
	v_dot2_f32_f16 v40, v118, v4, v40
	;;#ASMEND
	;;#ASMSTART
	v_dot2_f32_f16 v40, v119, v5, v40
	;;#ASMEND
	;;#ASMSTART
	v_dot2_f32_f16 v41, v116, v120, v41
	;;#ASMEND
	;;#ASMSTART
	v_dot2_f32_f16 v41, v117, v121, v41
	;;#ASMEND
	;;#ASMSTART
	v_dot2_f32_f16 v41, v118, v122, v41
	;;#ASMEND
	;;#ASMSTART
	v_dot2_f32_f16 v41, v119, v123, v41
	;;#ASMEND
	ds_read_b128 v[2:5], v71 offset:944
	ds_read_b128 v[104:107], v70 offset:48
	;; [unrolled: 1-line block ×6, first 2 shown]
	s_waitcnt lgkmcnt(4)
	;;#ASMSTART
	v_dot2_f32_f16 v34, v104, v2, v34
	;;#ASMEND
	;;#ASMSTART
	v_dot2_f32_f16 v34, v105, v3, v34
	;;#ASMEND
	;; [unrolled: 3-line block ×4, first 2 shown]
	s_waitcnt lgkmcnt(0)
	;;#ASMSTART
	v_dot2_f32_f16 v36, v104, v120, v36
	;;#ASMEND
	;;#ASMSTART
	v_dot2_f32_f16 v36, v105, v121, v36
	;;#ASMEND
	;; [unrolled: 3-line block ×28, first 2 shown]
	ds_read_b128 v[2:5], v71 offset:960
	ds_read_b128 v[104:107], v70 offset:64
	;; [unrolled: 1-line block ×6, first 2 shown]
	s_waitcnt lgkmcnt(4)
	;;#ASMSTART
	v_dot2_f32_f16 v34, v104, v2, v34
	;;#ASMEND
	;;#ASMSTART
	v_dot2_f32_f16 v34, v105, v3, v34
	;;#ASMEND
	;;#ASMSTART
	v_dot2_f32_f16 v34, v106, v4, v34
	;;#ASMEND
	;;#ASMSTART
	v_dot2_f32_f16 v34, v107, v5, v34
	;;#ASMEND
	s_waitcnt lgkmcnt(0)
	;;#ASMSTART
	v_dot2_f32_f16 v36, v104, v120, v36
	;;#ASMEND
	;;#ASMSTART
	v_dot2_f32_f16 v36, v105, v121, v36
	;;#ASMEND
	;; [unrolled: 3-line block ×28, first 2 shown]
	ds_read_b128 v[2:5], v71 offset:976
	ds_read_b128 v[104:107], v70 offset:80
	;; [unrolled: 1-line block ×6, first 2 shown]
	s_waitcnt lgkmcnt(4)
	;;#ASMSTART
	v_dot2_f32_f16 v34, v104, v2, v34
	;;#ASMEND
	;;#ASMSTART
	v_dot2_f32_f16 v34, v105, v3, v34
	;;#ASMEND
	;; [unrolled: 3-line block ×4, first 2 shown]
	s_waitcnt lgkmcnt(0)
	;;#ASMSTART
	v_dot2_f32_f16 v36, v104, v120, v36
	;;#ASMEND
	;;#ASMSTART
	v_dot2_f32_f16 v36, v105, v121, v36
	;;#ASMEND
	;; [unrolled: 3-line block ×28, first 2 shown]
	ds_read_b128 v[2:5], v71 offset:992
	ds_read_b128 v[104:107], v70 offset:96
	;; [unrolled: 1-line block ×6, first 2 shown]
	s_waitcnt lgkmcnt(4)
	;;#ASMSTART
	v_dot2_f32_f16 v34, v104, v2, v34
	;;#ASMEND
	;;#ASMSTART
	v_dot2_f32_f16 v34, v105, v3, v34
	;;#ASMEND
	;; [unrolled: 3-line block ×4, first 2 shown]
	s_waitcnt lgkmcnt(0)
	;;#ASMSTART
	v_dot2_f32_f16 v36, v104, v120, v36
	;;#ASMEND
	;;#ASMSTART
	v_dot2_f32_f16 v36, v105, v121, v36
	;;#ASMEND
	;; [unrolled: 3-line block ×28, first 2 shown]
	ds_read_b128 v[2:5], v71 offset:1008
	ds_read_b128 v[104:107], v70 offset:112
	;; [unrolled: 1-line block ×6, first 2 shown]
	s_waitcnt lgkmcnt(4)
	;;#ASMSTART
	v_dot2_f32_f16 v34, v104, v2, v34
	;;#ASMEND
	;;#ASMSTART
	v_dot2_f32_f16 v34, v105, v3, v34
	;;#ASMEND
	;; [unrolled: 3-line block ×4, first 2 shown]
	s_waitcnt lgkmcnt(0)
	;;#ASMSTART
	v_dot2_f32_f16 v36, v104, v120, v36
	;;#ASMEND
	;;#ASMSTART
	v_dot2_f32_f16 v36, v105, v121, v36
	;;#ASMEND
	;; [unrolled: 3-line block ×26, first 2 shown]
	v_mov_b32_e32 v7, s15
	v_add_co_u32_e64 v52, s[0:1], s14, v83
	v_mov_b32_e32 v43, s9
	v_add_co_u32_e64 v50, s[2:3], s8, v83
	;; [unrolled: 2-line block ×5, first 2 shown]
	;;#ASMSTART
	v_dot2_f32_f16 v41, v118, v122, v41
	;;#ASMEND
	v_addc_co_u32_e32 v55, vcc, v84, v6, vcc
	v_addc_co_u32_e64 v51, vcc, v84, v43, s[2:3]
	v_addc_co_u32_e64 v49, vcc, v84, v45, s[8:9]
	;; [unrolled: 1-line block ×4, first 2 shown]
	;;#ASMSTART
	v_dot2_f32_f16 v41, v119, v123, v41
	;;#ASMEND
	flat_load_ushort v58, v[0:1] offset:64
	flat_load_ushort v59, v[0:1]
	flat_load_ushort v103, v[0:1] offset:128
	flat_load_ushort v105, v[0:1] offset:192
	v_addc_co_u32_e64 v53, vcc, v84, v7, s[0:1]
	s_waitcnt lgkmcnt(0)
	s_barrier
	global_load_dwordx4 v[0:3], v[56:57], off
	global_load_dwordx4 v[4:7], v[56:57], off offset:512
	s_lshl_b64 s[10:11], s[10:11], 2
	v_mov_b32_e32 v47, s11
	v_add_co_u32_e64 v46, s[10:11], s10, v83
	v_addc_co_u32_e64 v47, vcc, v84, v47, s[10:11]
	s_waitcnt vmcnt(0)
	v_cvt_f32_f16_e32 v57, v58
	v_cvt_f32_f16_e32 v56, v59
	;; [unrolled: 1-line block ×4, first 2 shown]
	v_pk_add_f32 v[58:59], v[36:37], v[56:57]
	v_pk_add_f32 v[36:37], v[34:35], v[56:57]
	v_pk_add_f32 v[38:39], v[38:39], v[104:105] op_sel_hi:[1,0]
	v_pk_add_f32 v[40:41], v[40:41], v[106:107] op_sel_hi:[1,0]
	v_mov_b32_e32 v104, v36
	v_mov_b32_e32 v105, v58
	;; [unrolled: 1-line block ×4, first 2 shown]
	v_pk_add_f32 v[104:105], v[104:105], s[6:7] op_sel_hi:[1,0]
	v_pk_add_f32 v[106:107], v[106:107], s[6:7] op_sel_hi:[1,0]
	;; [unrolled: 1-line block ×4, first 2 shown]
	v_max3_f32 v103, v30, v104, v106
	v_max3_f32 v104, v31, v105, v107
	;; [unrolled: 1-line block ×4, first 2 shown]
	ds_bpermute_b32 v56, v102, v35
	ds_bpermute_b32 v57, v102, v34
	s_waitcnt lgkmcnt(1)
	v_max_f32_e32 v56, v56, v56
	s_waitcnt lgkmcnt(0)
	v_max_f32_e32 v57, v57, v57
	v_max_f32_e32 v35, v35, v56
	v_max_f32_e32 v34, v34, v57
	ds_bpermute_b32 v56, v101, v35
	ds_bpermute_b32 v57, v101, v34
	s_waitcnt lgkmcnt(1)
	v_max_f32_e32 v56, v56, v56
	s_waitcnt lgkmcnt(0)
	v_max_f32_e32 v57, v57, v57
	v_max_f32_e32 v35, v35, v56
	v_max_f32_e32 v34, v34, v57
	;; [unrolled: 8-line block ×5, first 2 shown]
	v_pk_add_f32 v[36:37], v[36:37], v[34:35] op_sel_hi:[1,0] neg_lo:[0,1] neg_hi:[0,1]
	v_pk_add_f32 v[56:57], v[38:39], v[34:35] neg_lo:[0,1] neg_hi:[0,1]
	v_mov_b32_e32 v60, v35
	v_pk_add_f32 v[40:41], v[40:41], v[34:35] neg_lo:[0,1] neg_hi:[0,1]
	v_pk_add_f32 v[38:39], v[30:31], v[34:35] neg_lo:[0,1] neg_hi:[0,1]
	v_mul_f32_e32 v99, 0x3fb8aa3b, v37
	v_mul_f32_e32 v100, 0x3fb8aa3b, v36
	;; [unrolled: 1-line block ×4, first 2 shown]
	v_pk_add_f32 v[58:59], v[58:59], v[60:61] op_sel_hi:[1,0] neg_lo:[0,1] neg_hi:[0,1]
	v_mul_f32_e32 v60, 0x3fb8aa3b, v41
	v_mul_f32_e32 v103, 0x3fb8aa3b, v40
	;; [unrolled: 1-line block ×4, first 2 shown]
	v_fma_f32 v106, v37, s41, -v99
	v_rndne_f32_e32 v107, v99
	v_fma_f32 v108, v36, s41, -v100
	v_rndne_f32_e32 v109, v100
	;; [unrolled: 2-line block ×4, first 2 shown]
	v_mul_f32_e32 v114, 0x3fb8aa3b, v59
	v_mul_f32_e32 v115, 0x3fb8aa3b, v58
	v_fma_f32 v116, v41, s41, -v60
	v_rndne_f32_e32 v117, v60
	v_fma_f32 v118, v40, s41, -v103
	v_rndne_f32_e32 v119, v103
	v_fma_f32 v120, v39, s41, -v104
	v_rndne_f32_e32 v121, v104
	v_fma_f32 v122, v38, s41, -v105
	v_rndne_f32_e32 v123, v105
	v_fmac_f32_e32 v106, 0x32a5705f, v37
	v_sub_f32_e32 v99, v99, v107
	v_fmac_f32_e32 v108, 0x32a5705f, v36
	v_sub_f32_e32 v100, v100, v109
	;; [unrolled: 2-line block ×4, first 2 shown]
	v_fma_f32 v124, v59, s41, -v114
	v_rndne_f32_e32 v125, v114
	v_fma_f32 v126, v58, s41, -v115
	v_rndne_f32_e32 v127, v115
	v_fmac_f32_e32 v116, 0x32a5705f, v41
	v_sub_f32_e32 v60, v60, v117
	v_fmac_f32_e32 v118, 0x32a5705f, v40
	v_sub_f32_e32 v103, v103, v119
	;; [unrolled: 2-line block ×4, first 2 shown]
	v_add_f32_e32 v99, v99, v106
	v_add_f32_e32 v100, v100, v108
	;; [unrolled: 1-line block ×4, first 2 shown]
	v_fmac_f32_e32 v124, 0x32a5705f, v59
	v_sub_f32_e32 v106, v114, v125
	v_fmac_f32_e32 v126, 0x32a5705f, v58
	v_sub_f32_e32 v110, v115, v127
	v_cvt_i32_f32_e32 v107, v107
	v_cvt_i32_f32_e32 v109, v109
	;; [unrolled: 1-line block ×4, first 2 shown]
	v_add_f32_e32 v60, v60, v116
	v_add_f32_e32 v103, v103, v118
	;; [unrolled: 1-line block ×4, first 2 shown]
	v_exp_f32_e32 v99, v99
	v_exp_f32_e32 v100, v100
	;; [unrolled: 1-line block ×4, first 2 shown]
	v_add_f32_e32 v106, v106, v124
	v_add_f32_e32 v110, v110, v126
	v_cvt_i32_f32_e32 v117, v117
	v_cvt_i32_f32_e32 v119, v119
	;; [unrolled: 1-line block ×6, first 2 shown]
	v_exp_f32_e32 v60, v60
	v_exp_f32_e32 v103, v103
	v_exp_f32_e32 v104, v104
	v_exp_f32_e32 v105, v105
	v_exp_f32_e32 v106, v106
	v_exp_f32_e32 v110, v110
	v_ldexp_f32 v99, v99, v107
	v_ldexp_f32 v100, v100, v109
	v_cmp_ngt_f32_e32 vcc, s43, v36
	v_ldexp_f32 v101, v101, v111
	v_cmp_ngt_f32_e64 s[0:1], s43, v57
	v_ldexp_f32 v102, v102, v113
	v_cmp_ngt_f32_e64 s[2:3], s43, v56
	v_cmp_ngt_f32_e64 s[16:17], s43, v37
	v_ldexp_f32 v60, v60, v117
	v_cmp_ngt_f32_e64 s[8:9], s43, v41
	v_ldexp_f32 v103, v103, v119
	;; [unrolled: 2-line block ×4, first 2 shown]
	v_cmp_ngt_f32_e64 s[14:15], s43, v38
	v_cndmask_b32_e64 v99, 0, v99, s[16:17]
	v_cndmask_b32_e32 v100, 0, v100, vcc
	v_cmp_nlt_f32_e32 vcc, s44, v36
	v_cndmask_b32_e64 v101, 0, v101, s[0:1]
	v_cmp_nlt_f32_e64 s[0:1], s44, v57
	v_cndmask_b32_e64 v57, 0, v102, s[2:3]
	v_cmp_nlt_f32_e64 s[2:3], s44, v56
	v_ldexp_f32 v56, v106, v108
	v_cmp_ngt_f32_e64 s[16:17], s43, v59
	v_ldexp_f32 v102, v110, v112
	v_cmp_ngt_f32_e64 s[18:19], s43, v58
	v_cmp_nlt_f32_e64 s[20:21], s44, v37
	v_cndmask_b32_e64 v60, 0, v60, s[8:9]
	v_cmp_nlt_f32_e64 s[8:9], s44, v41
	v_cndmask_b32_e64 v103, 0, v103, s[10:11]
	;; [unrolled: 2-line block ×5, first 2 shown]
	v_cndmask_b32_e32 v38, v87, v100, vcc
	v_cndmask_b32_e64 v41, v87, v101, s[0:1]
	v_cndmask_b32_e64 v37, 0, v56, s[16:17]
	;; [unrolled: 1-line block ×3, first 2 shown]
	v_cmp_nlt_f32_e32 vcc, s44, v58
	v_cmp_nlt_f32_e64 s[0:1], s44, v59
	v_cndmask_b32_e64 v40, v87, v57, s[2:3]
	v_cndmask_b32_e64 v57, v87, v60, s[8:9]
	;; [unrolled: 1-line block ×6, first 2 shown]
	v_cndmask_b32_e32 v39, v87, v99, vcc
	v_cvt_f16_f32_e32 v58, v38
	v_cvt_f16_f32_e32 v59, v36
	;; [unrolled: 1-line block ×10, first 2 shown]
	v_pk_add_f32 v[36:37], v[38:39], v[36:37]
	v_pk_add_f32 v[36:37], v[40:41], v[36:37]
	;; [unrolled: 1-line block ×3, first 2 shown]
	v_pack_b32_f16 v38, v99, v60
	v_pk_mul_f16 v229, v223, v10 op_sel_hi:[0,1]
	v_pk_mul_f16 v231, v223, v8 op_sel_hi:[0,1]
	v_pk_mul_f16 v233, v223, v9 op_sel_hi:[0,1]
	v_pack_b32_f16 v8, v102, v103
	v_pack_b32_f16 v9, v58, v104
	;; [unrolled: 1-line block ×3, first 2 shown]
	v_pk_fma_f32 v[22:23], v[22:23], v[100:101], v[36:37]
	v_pk_mul_f16 v40, v222, v98 op_sel_hi:[0,1]
	v_pk_mul_f16 v41, v222, v18 op_sel_hi:[0,1]
	;; [unrolled: 1-line block ×10, first 2 shown]
	ds_write2_b32 v88, v9, v10 offset1:32
	ds_write2_b32 v88, v38, v8 offset0:64 offset1:96
	ds_write_b128 v80, v[0:3]
	ds_write_b128 v81, v[4:7]
	s_waitcnt lgkmcnt(0)
	s_barrier
	ds_read2_b64 v[36:39], v82 offset1:32
	ds_read2_b64 v[56:59], v82 offset0:64 offset1:96
	ds_read_b128 v[98:101], v79
	ds_read_b128 v[102:105], v79 offset:16
	ds_read_b128 v[106:109], v79 offset:32
	;; [unrolled: 1-line block ×3, first 2 shown]
	ds_read2_b64 v[110:113], v82 offset0:128 offset1:160
	ds_read2_b64 v[114:117], v82 offset0:192 offset1:224
	ds_read2_b64 v[118:121], v89 offset1:32
	ds_read2_b64 v[122:125], v89 offset0:64 offset1:96
	ds_read2_b64 v[126:129], v89 offset0:128 offset1:160
	ds_read2_b64 v[130:133], v89 offset0:192 offset1:224
	ds_read2_b64 v[134:137], v90 offset1:32
	ds_read2_b64 v[138:141], v90 offset0:64 offset1:96
	;; [unrolled: 4-line block ×7, first 2 shown]
	ds_read2_b64 v[4:7], v95 offset0:128 offset1:160
	ds_read2_b64 v[16:19], v95 offset0:192 offset1:224
	s_waitcnt lgkmcnt(0)
	s_barrier
	global_load_dwordx4 v[8:11], v[54:55], off
	global_load_dwordx4 v[12:15], v[54:55], off offset:512
	v_pk_mul_f16 v54, v36, v98 op_sel_hi:[1,0]
	v_pk_mul_f16 v36, v36, v98 op_sel:[0,1]
	v_pk_mul_f16 v55, v37, v98 op_sel_hi:[1,0]
	v_pk_fma_f16 v37, v37, v98, v227 op_sel:[0,1,0]
	v_pk_fma_f16 v40, v38, v98, v40 op_sel_hi:[1,0,1]
	v_pk_fma_f16 v38, v38, v98, v228 op_sel:[0,1,0]
	v_pk_fma_f16 v41, v39, v98, v41 op_sel_hi:[1,0,1]
	;; [unrolled: 2-line block ×7, first 2 shown]
	v_pk_fma_f16 v36, v223, v96, v36 op_sel_hi:[0,1,1]
	v_pk_fma_f16 v32, v222, v32, v55 op_sel_hi:[0,1,1]
	v_pk_fma_f16 v37, v111, v99, v37 op_sel:[0,1,0]
	v_pk_fma_f16 v40, v112, v99, v40 op_sel_hi:[1,0,1]
	v_pk_fma_f16 v38, v112, v99, v38 op_sel:[0,1,0]
	;; [unrolled: 2-line block ×120, first 2 shown]
	v_pk_fma_f16 v229, v5, v3, v0 op_sel_hi:[1,0,1]
	s_waitcnt vmcnt(1)
	ds_write_b128 v80, v[8:11]
	s_waitcnt vmcnt(0)
	ds_write_b128 v81, v[12:15]
	s_waitcnt lgkmcnt(0)
	s_barrier
	ds_read2_b64 v[16:19], v82 offset1:32
	ds_read2_b64 v[36:39], v82 offset0:64 offset1:96
	ds_read_b128 v[54:57], v79 offset:64
	ds_read_b128 v[96:99], v79 offset:80
	;; [unrolled: 1-line block ×4, first 2 shown]
	ds_read2_b64 v[104:107], v82 offset0:128 offset1:160
	ds_read2_b64 v[108:111], v82 offset0:192 offset1:224
	ds_read2_b64 v[112:115], v89 offset1:32
	ds_read2_b64 v[116:119], v89 offset0:64 offset1:96
	ds_read2_b64 v[120:123], v89 offset0:128 offset1:160
	ds_read2_b64 v[124:127], v89 offset0:192 offset1:224
	ds_read2_b64 v[128:131], v90 offset1:32
	ds_read2_b64 v[132:135], v90 offset0:64 offset1:96
	;; [unrolled: 4-line block ×7, first 2 shown]
	ds_read2_b64 v[216:219], v95 offset0:128 offset1:160
	ds_read2_b64 v[4:7], v95 offset0:192 offset1:224
	s_waitcnt lgkmcnt(0)
	s_barrier
	global_load_dwordx4 v[8:11], v[52:53], off
	global_load_dwordx4 v[12:15], v[52:53], off offset:512
	v_pk_fma_f16 v52, v16, v54, v227 op_sel_hi:[1,0,1]
	v_pk_fma_f16 v16, v16, v54, v228 op_sel:[0,1,0]
	v_pk_fma_f16 v53, v17, v54, v229 op_sel_hi:[1,0,1]
	v_pk_fma_f16 v17, v17, v54, v220 op_sel:[0,1,0]
	;; [unrolled: 2-line block ×128, first 2 shown]
	s_waitcnt vmcnt(1)
	ds_write_b128 v80, v[8:11]
	s_waitcnt vmcnt(0)
	ds_write_b128 v81, v[12:15]
	s_waitcnt lgkmcnt(0)
	s_barrier
	ds_read2_b64 v[16:19], v82 offset1:32
	ds_read2_b64 v[36:39], v82 offset0:64 offset1:96
	ds_read_b128 v[52:55], v79 offset:128
	ds_read_b128 v[56:59], v79 offset:144
	;; [unrolled: 1-line block ×4, first 2 shown]
	ds_read2_b64 v[100:103], v82 offset0:128 offset1:160
	ds_read2_b64 v[104:107], v82 offset0:192 offset1:224
	ds_read2_b64 v[108:111], v89 offset1:32
	ds_read2_b64 v[112:115], v89 offset0:64 offset1:96
	ds_read2_b64 v[116:119], v89 offset0:128 offset1:160
	ds_read2_b64 v[120:123], v89 offset0:192 offset1:224
	ds_read2_b64 v[124:127], v90 offset1:32
	ds_read2_b64 v[128:131], v90 offset0:64 offset1:96
	;; [unrolled: 4-line block ×7, first 2 shown]
	ds_read2_b64 v[212:215], v95 offset0:128 offset1:160
	ds_read2_b64 v[4:7], v95 offset0:192 offset1:224
	s_waitcnt lgkmcnt(0)
	s_barrier
	global_load_dwordx4 v[8:11], v[50:51], off
	global_load_dwordx4 v[12:15], v[50:51], off offset:512
	v_pk_fma_f16 v50, v16, v52, v60 op_sel_hi:[1,0,1]
	v_pk_fma_f16 v16, v16, v52, v216 op_sel:[0,1,0]
	v_pk_fma_f16 v51, v17, v52, v220 op_sel_hi:[1,0,1]
	v_pk_fma_f16 v17, v17, v52, v217 op_sel:[0,1,0]
	;; [unrolled: 2-line block ×128, first 2 shown]
	s_waitcnt vmcnt(1)
	ds_write_b128 v80, v[8:11]
	s_waitcnt vmcnt(0)
	ds_write_b128 v81, v[12:15]
	s_waitcnt lgkmcnt(0)
	s_barrier
	ds_read2_b64 v[16:19], v82 offset1:32
	ds_read2_b64 v[36:39], v82 offset0:64 offset1:96
	ds_read_b128 v[50:53], v79 offset:192
	ds_read_b128 v[54:57], v79 offset:208
	;; [unrolled: 1-line block ×4, first 2 shown]
	ds_read2_b64 v[100:103], v82 offset0:128 offset1:160
	ds_read2_b64 v[104:107], v82 offset0:192 offset1:224
	ds_read2_b64 v[108:111], v89 offset1:32
	ds_read2_b64 v[112:115], v89 offset0:64 offset1:96
	ds_read2_b64 v[116:119], v89 offset0:128 offset1:160
	ds_read2_b64 v[120:123], v89 offset0:192 offset1:224
	ds_read2_b64 v[124:127], v90 offset1:32
	ds_read2_b64 v[128:131], v90 offset0:64 offset1:96
	;; [unrolled: 4-line block ×7, first 2 shown]
	ds_read2_b64 v[212:215], v95 offset0:128 offset1:160
	ds_read2_b64 v[4:7], v95 offset0:192 offset1:224
	s_waitcnt lgkmcnt(0)
	s_barrier
	global_load_dwordx4 v[8:11], v[48:49], off
	global_load_dwordx4 v[12:15], v[48:49], off offset:512
	v_pk_fma_f16 v48, v16, v50, v58 op_sel_hi:[1,0,1]
	v_pk_fma_f16 v16, v16, v50, v59 op_sel:[0,1,0]
	v_pk_fma_f16 v49, v17, v50, v60 op_sel_hi:[1,0,1]
	v_pk_fma_f16 v17, v17, v50, v216 op_sel:[0,1,0]
	;; [unrolled: 2-line block ×128, first 2 shown]
	s_waitcnt vmcnt(1)
	ds_write_b128 v80, v[8:11]
	s_waitcnt vmcnt(0)
	ds_write_b128 v81, v[12:15]
	s_waitcnt lgkmcnt(0)
	s_barrier
	ds_read2_b64 v[16:19], v82 offset1:32
	ds_read2_b64 v[36:39], v82 offset0:64 offset1:96
	ds_read_b128 v[48:51], v79 offset:256
	ds_read_b128 v[52:55], v79 offset:272
	;; [unrolled: 1-line block ×4, first 2 shown]
	ds_read2_b64 v[96:99], v82 offset0:128 offset1:160
	ds_read2_b64 v[100:103], v82 offset0:192 offset1:224
	ds_read2_b64 v[104:107], v89 offset1:32
	ds_read2_b64 v[108:111], v89 offset0:64 offset1:96
	ds_read2_b64 v[112:115], v89 offset0:128 offset1:160
	ds_read2_b64 v[116:119], v89 offset0:192 offset1:224
	ds_read2_b64 v[120:123], v90 offset1:32
	ds_read2_b64 v[124:127], v90 offset0:64 offset1:96
	;; [unrolled: 4-line block ×7, first 2 shown]
	ds_read2_b64 v[208:211], v95 offset0:128 offset1:160
	ds_read2_b64 v[4:7], v95 offset0:192 offset1:224
	s_waitcnt lgkmcnt(0)
	s_barrier
	global_load_dwordx4 v[8:11], v[46:47], off
	global_load_dwordx4 v[12:15], v[46:47], off offset:512
	v_pk_fma_f16 v46, v16, v48, v60 op_sel_hi:[1,0,1]
	v_pk_fma_f16 v16, v16, v48, v212 op_sel:[0,1,0]
	v_pk_fma_f16 v47, v17, v48, v216 op_sel_hi:[1,0,1]
	v_pk_fma_f16 v17, v17, v48, v213 op_sel:[0,1,0]
	;; [unrolled: 2-line block ×128, first 2 shown]
	s_waitcnt vmcnt(1)
	ds_write_b128 v80, v[8:11]
	s_waitcnt vmcnt(0)
	ds_write_b128 v81, v[12:15]
	s_waitcnt lgkmcnt(0)
	s_barrier
	ds_read2_b64 v[16:19], v82 offset1:32
	ds_read2_b64 v[36:39], v82 offset0:64 offset1:96
	ds_read_b128 v[46:49], v79 offset:320
	ds_read_b128 v[50:53], v79 offset:336
	;; [unrolled: 1-line block ×4, first 2 shown]
	ds_read2_b64 v[96:99], v82 offset0:128 offset1:160
	ds_read2_b64 v[100:103], v82 offset0:192 offset1:224
	ds_read2_b64 v[104:107], v89 offset1:32
	ds_read2_b64 v[108:111], v89 offset0:64 offset1:96
	ds_read2_b64 v[112:115], v89 offset0:128 offset1:160
	ds_read2_b64 v[116:119], v89 offset0:192 offset1:224
	ds_read2_b64 v[120:123], v90 offset1:32
	ds_read2_b64 v[124:127], v90 offset0:64 offset1:96
	;; [unrolled: 4-line block ×7, first 2 shown]
	ds_read2_b64 v[208:211], v95 offset0:128 offset1:160
	ds_read2_b64 v[4:7], v95 offset0:192 offset1:224
	s_waitcnt lgkmcnt(0)
	s_barrier
	global_load_dwordx4 v[8:11], v[44:45], off
	global_load_dwordx4 v[12:15], v[44:45], off offset:512
	v_pk_fma_f16 v44, v16, v46, v58 op_sel_hi:[1,0,1]
	v_pk_fma_f16 v16, v16, v46, v59 op_sel:[0,1,0]
	v_pk_fma_f16 v45, v17, v46, v60 op_sel_hi:[1,0,1]
	v_pk_fma_f16 v17, v17, v46, v212 op_sel:[0,1,0]
	;; [unrolled: 2-line block ×128, first 2 shown]
	s_waitcnt vmcnt(1)
	ds_write_b128 v80, v[8:11]
	s_waitcnt vmcnt(0)
	ds_write_b128 v81, v[12:15]
	s_waitcnt lgkmcnt(0)
	s_barrier
	ds_read2_b64 v[16:19], v82 offset1:32
	ds_read2_b64 v[36:39], v82 offset0:64 offset1:96
	ds_read_b128 v[44:47], v79 offset:384
	ds_read_b128 v[48:51], v79 offset:400
	;; [unrolled: 1-line block ×4, first 2 shown]
	ds_read2_b64 v[56:59], v82 offset0:128 offset1:160
	ds_read2_b64 v[96:99], v82 offset0:192 offset1:224
	ds_read2_b64 v[100:103], v89 offset1:32
	ds_read2_b64 v[104:107], v89 offset0:64 offset1:96
	ds_read2_b64 v[108:111], v89 offset0:128 offset1:160
	ds_read2_b64 v[112:115], v89 offset0:192 offset1:224
	ds_read2_b64 v[116:119], v90 offset1:32
	ds_read2_b64 v[120:123], v90 offset0:64 offset1:96
	;; [unrolled: 4-line block ×7, first 2 shown]
	ds_read2_b64 v[204:207], v95 offset0:128 offset1:160
	ds_read2_b64 v[4:7], v95 offset0:192 offset1:224
	s_waitcnt lgkmcnt(0)
	s_barrier
	global_load_dwordx4 v[8:11], v[42:43], off
	global_load_dwordx4 v[12:15], v[42:43], off offset:512
	v_pk_fma_f16 v42, v16, v44, v60 op_sel_hi:[1,0,1]
	v_pk_fma_f16 v16, v16, v44, v208 op_sel:[0,1,0]
	v_pk_fma_f16 v43, v17, v44, v212 op_sel_hi:[1,0,1]
	v_pk_fma_f16 v17, v17, v44, v209 op_sel:[0,1,0]
	;; [unrolled: 2-line block ×128, first 2 shown]
	s_waitcnt vmcnt(1)
	ds_write_b128 v80, v[8:11]
	s_waitcnt vmcnt(0)
	ds_write_b128 v81, v[12:15]
	s_waitcnt lgkmcnt(0)
	s_barrier
	ds_read2_b64 v[12:15], v82 offset1:32
	ds_read2_b64 v[16:19], v82 offset0:64 offset1:96
	ds_read_b128 v[36:39], v79 offset:448
	ds_read_b128 v[40:43], v79 offset:464
	;; [unrolled: 1-line block ×4, first 2 shown]
	ds_read2_b64 v[48:51], v82 offset0:128 offset1:160
	ds_read2_b64 v[52:55], v82 offset0:192 offset1:224
	ds_read2_b64 v[56:59], v89 offset1:32
	ds_read2_b64 v[96:99], v89 offset0:64 offset1:96
	ds_read2_b64 v[100:103], v89 offset0:128 offset1:160
	ds_read2_b64 v[104:107], v89 offset0:192 offset1:224
	ds_read2_b64 v[108:111], v90 offset1:32
	ds_read2_b64 v[112:115], v90 offset0:64 offset1:96
	;; [unrolled: 4-line block ×7, first 2 shown]
	ds_read2_b64 v[8:11], v95 offset0:128 offset1:160
	ds_read2_b64 v[4:7], v95 offset0:192 offset1:224
	s_waitcnt lgkmcnt(14)
	v_pk_fma_f16 v60, v12, v36, v60 op_sel_hi:[1,0,1]
	v_pk_fma_f16 v12, v12, v36, v196 op_sel:[0,1,0]
	v_pk_fma_f16 v196, v13, v36, v197 op_sel_hi:[1,0,1]
	v_pk_fma_f16 v13, v13, v36, v198 op_sel:[0,1,0]
	v_pk_fma_f16 v32, v14, v36, v32 op_sel_hi:[1,0,1]
	v_pk_fma_f16 v14, v14, v36, v199 op_sel:[0,1,0]
	v_pk_fma_f16 v197, v15, v36, v200 op_sel_hi:[1,0,1]
	v_pk_fma_f16 v15, v15, v36, v201 op_sel:[0,1,0]
	v_pk_fma_f16 v198, v16, v36, v202 op_sel_hi:[1,0,1]
	v_pk_fma_f16 v16, v16, v36, v203 op_sel:[0,1,0]
	v_pk_fma_f16 v199, v17, v36, v204 op_sel_hi:[1,0,1]
	v_pk_fma_f16 v17, v17, v36, v205 op_sel:[0,1,0]
	v_pk_fma_f16 v200, v18, v36, v206 op_sel_hi:[1,0,1]
	v_pk_fma_f16 v18, v18, v36, v207 op_sel:[0,1,0]
	v_pk_fma_f16 v201, v19, v36, v208 op_sel_hi:[1,0,1]
	v_pk_fma_f16 v19, v19, v36, v209 op_sel:[0,1,0]
	v_pk_fma_f16 v36, v48, v37, v60 op_sel_hi:[1,0,1]
	v_pk_fma_f16 v12, v48, v37, v12 op_sel:[0,1,0]
	v_pk_fma_f16 v48, v49, v37, v196 op_sel_hi:[1,0,1]
	v_pk_fma_f16 v13, v49, v37, v13 op_sel:[0,1,0]
	v_pk_fma_f16 v32, v50, v37, v32 op_sel_hi:[1,0,1]
	v_pk_fma_f16 v14, v50, v37, v14 op_sel:[0,1,0]
	v_pk_fma_f16 v49, v51, v37, v197 op_sel_hi:[1,0,1]
	v_pk_fma_f16 v15, v51, v37, v15 op_sel:[0,1,0]
	v_pk_fma_f16 v50, v52, v37, v198 op_sel_hi:[1,0,1]
	v_pk_fma_f16 v16, v52, v37, v16 op_sel:[0,1,0]
	v_pk_fma_f16 v51, v53, v37, v199 op_sel_hi:[1,0,1]
	v_pk_fma_f16 v17, v53, v37, v17 op_sel:[0,1,0]
	v_pk_fma_f16 v52, v54, v37, v200 op_sel_hi:[1,0,1]
	v_pk_fma_f16 v18, v54, v37, v18 op_sel:[0,1,0]
	v_pk_fma_f16 v53, v55, v37, v201 op_sel_hi:[1,0,1]
	v_pk_fma_f16 v19, v55, v37, v19 op_sel:[0,1,0]
	v_pk_fma_f16 v36, v56, v38, v36 op_sel_hi:[1,0,1]
	v_pk_fma_f16 v12, v56, v38, v12 op_sel:[0,1,0]
	v_pk_fma_f16 v37, v57, v38, v48 op_sel_hi:[1,0,1]
	v_pk_fma_f16 v13, v57, v38, v13 op_sel:[0,1,0]
	v_pk_fma_f16 v32, v58, v38, v32 op_sel_hi:[1,0,1]
	v_pk_fma_f16 v14, v58, v38, v14 op_sel:[0,1,0]
	v_pk_fma_f16 v48, v59, v38, v49 op_sel_hi:[1,0,1]
	v_pk_fma_f16 v15, v59, v38, v15 op_sel:[0,1,0]
	v_pk_fma_f16 v49, v96, v38, v50 op_sel_hi:[1,0,1]
	v_pk_fma_f16 v16, v96, v38, v16 op_sel:[0,1,0]
	v_pk_fma_f16 v50, v97, v38, v51 op_sel_hi:[1,0,1]
	v_pk_fma_f16 v17, v97, v38, v17 op_sel:[0,1,0]
	v_pk_fma_f16 v51, v98, v38, v52 op_sel_hi:[1,0,1]
	v_pk_fma_f16 v18, v98, v38, v18 op_sel:[0,1,0]
	v_pk_fma_f16 v52, v99, v38, v53 op_sel_hi:[1,0,1]
	v_pk_fma_f16 v19, v99, v38, v19 op_sel:[0,1,0]
	v_pk_fma_f16 v36, v100, v39, v36 op_sel_hi:[1,0,1]
	v_pk_fma_f16 v12, v100, v39, v12 op_sel:[0,1,0]
	v_pk_fma_f16 v37, v101, v39, v37 op_sel_hi:[1,0,1]
	v_pk_fma_f16 v13, v101, v39, v13 op_sel:[0,1,0]
	v_pk_fma_f16 v32, v102, v39, v32 op_sel_hi:[1,0,1]
	v_pk_fma_f16 v14, v102, v39, v14 op_sel:[0,1,0]
	v_pk_fma_f16 v38, v103, v39, v48 op_sel_hi:[1,0,1]
	v_pk_fma_f16 v15, v103, v39, v15 op_sel:[0,1,0]
	v_pk_fma_f16 v48, v104, v39, v49 op_sel_hi:[1,0,1]
	v_pk_fma_f16 v16, v104, v39, v16 op_sel:[0,1,0]
	v_pk_fma_f16 v49, v105, v39, v50 op_sel_hi:[1,0,1]
	v_pk_fma_f16 v17, v105, v39, v17 op_sel:[0,1,0]
	v_pk_fma_f16 v50, v106, v39, v51 op_sel_hi:[1,0,1]
	v_pk_fma_f16 v18, v106, v39, v18 op_sel:[0,1,0]
	v_pk_fma_f16 v51, v107, v39, v52 op_sel_hi:[1,0,1]
	v_pk_fma_f16 v19, v107, v39, v19 op_sel:[0,1,0]
	v_pk_fma_f16 v36, v108, v40, v36 op_sel_hi:[1,0,1]
	v_pk_fma_f16 v12, v108, v40, v12 op_sel:[0,1,0]
	v_pk_fma_f16 v37, v109, v40, v37 op_sel_hi:[1,0,1]
	v_pk_fma_f16 v13, v109, v40, v13 op_sel:[0,1,0]
	v_pk_fma_f16 v32, v110, v40, v32 op_sel_hi:[1,0,1]
	v_pk_fma_f16 v14, v110, v40, v14 op_sel:[0,1,0]
	v_pk_fma_f16 v38, v111, v40, v38 op_sel_hi:[1,0,1]
	v_pk_fma_f16 v15, v111, v40, v15 op_sel:[0,1,0]
	v_pk_fma_f16 v39, v112, v40, v48 op_sel_hi:[1,0,1]
	v_pk_fma_f16 v16, v112, v40, v16 op_sel:[0,1,0]
	v_pk_fma_f16 v48, v113, v40, v49 op_sel_hi:[1,0,1]
	v_pk_fma_f16 v17, v113, v40, v17 op_sel:[0,1,0]
	v_pk_fma_f16 v49, v114, v40, v50 op_sel_hi:[1,0,1]
	v_pk_fma_f16 v18, v114, v40, v18 op_sel:[0,1,0]
	v_pk_fma_f16 v50, v115, v40, v51 op_sel_hi:[1,0,1]
	v_pk_fma_f16 v19, v115, v40, v19 op_sel:[0,1,0]
	v_pk_fma_f16 v36, v116, v41, v36 op_sel_hi:[1,0,1]
	v_pk_fma_f16 v12, v116, v41, v12 op_sel:[0,1,0]
	v_pk_fma_f16 v37, v117, v41, v37 op_sel_hi:[1,0,1]
	v_pk_fma_f16 v13, v117, v41, v13 op_sel:[0,1,0]
	v_pk_fma_f16 v32, v118, v41, v32 op_sel_hi:[1,0,1]
	v_pk_fma_f16 v14, v118, v41, v14 op_sel:[0,1,0]
	v_pk_fma_f16 v38, v119, v41, v38 op_sel_hi:[1,0,1]
	v_pk_fma_f16 v15, v119, v41, v15 op_sel:[0,1,0]
	v_pk_fma_f16 v39, v120, v41, v39 op_sel_hi:[1,0,1]
	v_pk_fma_f16 v16, v120, v41, v16 op_sel:[0,1,0]
	v_pk_fma_f16 v40, v121, v41, v48 op_sel_hi:[1,0,1]
	v_pk_fma_f16 v17, v121, v41, v17 op_sel:[0,1,0]
	v_pk_fma_f16 v48, v122, v41, v49 op_sel_hi:[1,0,1]
	v_pk_fma_f16 v18, v122, v41, v18 op_sel:[0,1,0]
	v_pk_fma_f16 v49, v123, v41, v50 op_sel_hi:[1,0,1]
	v_pk_fma_f16 v19, v123, v41, v19 op_sel:[0,1,0]
	v_pk_fma_f16 v36, v124, v42, v36 op_sel_hi:[1,0,1]
	v_pk_fma_f16 v12, v124, v42, v12 op_sel:[0,1,0]
	v_pk_fma_f16 v37, v125, v42, v37 op_sel_hi:[1,0,1]
	v_pk_fma_f16 v13, v125, v42, v13 op_sel:[0,1,0]
	v_pk_fma_f16 v32, v126, v42, v32 op_sel_hi:[1,0,1]
	v_pk_fma_f16 v14, v126, v42, v14 op_sel:[0,1,0]
	v_pk_fma_f16 v38, v127, v42, v38 op_sel_hi:[1,0,1]
	v_pk_fma_f16 v15, v127, v42, v15 op_sel:[0,1,0]
	v_pk_fma_f16 v39, v128, v42, v39 op_sel_hi:[1,0,1]
	v_pk_fma_f16 v16, v128, v42, v16 op_sel:[0,1,0]
	v_pk_fma_f16 v40, v129, v42, v40 op_sel_hi:[1,0,1]
	v_pk_fma_f16 v17, v129, v42, v17 op_sel:[0,1,0]
	v_pk_fma_f16 v41, v130, v42, v48 op_sel_hi:[1,0,1]
	v_pk_fma_f16 v18, v130, v42, v18 op_sel:[0,1,0]
	v_pk_fma_f16 v48, v131, v42, v49 op_sel_hi:[1,0,1]
	v_pk_fma_f16 v19, v131, v42, v19 op_sel:[0,1,0]
	v_pk_fma_f16 v36, v132, v43, v36 op_sel_hi:[1,0,1]
	v_pk_fma_f16 v12, v132, v43, v12 op_sel:[0,1,0]
	v_pk_fma_f16 v37, v133, v43, v37 op_sel_hi:[1,0,1]
	v_pk_fma_f16 v13, v133, v43, v13 op_sel:[0,1,0]
	v_pk_fma_f16 v32, v134, v43, v32 op_sel_hi:[1,0,1]
	v_pk_fma_f16 v14, v134, v43, v14 op_sel:[0,1,0]
	v_pk_fma_f16 v38, v135, v43, v38 op_sel_hi:[1,0,1]
	v_pk_fma_f16 v15, v135, v43, v15 op_sel:[0,1,0]
	v_pk_fma_f16 v39, v136, v43, v39 op_sel_hi:[1,0,1]
	v_pk_fma_f16 v16, v136, v43, v16 op_sel:[0,1,0]
	v_pk_fma_f16 v40, v137, v43, v40 op_sel_hi:[1,0,1]
	v_pk_fma_f16 v17, v137, v43, v17 op_sel:[0,1,0]
	v_pk_fma_f16 v41, v138, v43, v41 op_sel_hi:[1,0,1]
	v_pk_fma_f16 v18, v138, v43, v18 op_sel:[0,1,0]
	v_pk_fma_f16 v42, v139, v43, v48 op_sel_hi:[1,0,1]
	v_pk_fma_f16 v19, v139, v43, v19 op_sel:[0,1,0]
	s_waitcnt lgkmcnt(0)
	s_barrier
	s_load_dword s0, s[22:23], 0x4
	v_pk_fma_f16 v36, v140, v44, v36 op_sel_hi:[1,0,1]
	v_pk_fma_f16 v12, v140, v44, v12 op_sel:[0,1,0]
	v_pk_fma_f16 v37, v141, v44, v37 op_sel_hi:[1,0,1]
	v_pk_fma_f16 v13, v141, v44, v13 op_sel:[0,1,0]
	v_pk_fma_f16 v32, v142, v44, v32 op_sel_hi:[1,0,1]
	v_pk_fma_f16 v14, v142, v44, v14 op_sel:[0,1,0]
	v_pk_fma_f16 v38, v143, v44, v38 op_sel_hi:[1,0,1]
	v_pk_fma_f16 v15, v143, v44, v15 op_sel:[0,1,0]
	v_pk_fma_f16 v39, v144, v44, v39 op_sel_hi:[1,0,1]
	v_pk_fma_f16 v16, v144, v44, v16 op_sel:[0,1,0]
	v_pk_fma_f16 v40, v145, v44, v40 op_sel_hi:[1,0,1]
	v_pk_fma_f16 v17, v145, v44, v17 op_sel:[0,1,0]
	v_pk_fma_f16 v41, v146, v44, v41 op_sel_hi:[1,0,1]
	v_pk_fma_f16 v18, v146, v44, v18 op_sel:[0,1,0]
	v_pk_fma_f16 v42, v147, v44, v42 op_sel_hi:[1,0,1]
	v_pk_fma_f16 v19, v147, v44, v19 op_sel:[0,1,0]
	v_pk_fma_f16 v36, v148, v45, v36 op_sel_hi:[1,0,1]
	v_pk_fma_f16 v12, v148, v45, v12 op_sel:[0,1,0]
	v_pk_fma_f16 v37, v149, v45, v37 op_sel_hi:[1,0,1]
	v_pk_fma_f16 v13, v149, v45, v13 op_sel:[0,1,0]
	v_pk_fma_f16 v32, v150, v45, v32 op_sel_hi:[1,0,1]
	v_pk_fma_f16 v14, v150, v45, v14 op_sel:[0,1,0]
	v_pk_fma_f16 v38, v151, v45, v38 op_sel_hi:[1,0,1]
	v_pk_fma_f16 v15, v151, v45, v15 op_sel:[0,1,0]
	v_pk_fma_f16 v39, v152, v45, v39 op_sel_hi:[1,0,1]
	v_pk_fma_f16 v16, v152, v45, v16 op_sel:[0,1,0]
	v_pk_fma_f16 v40, v153, v45, v40 op_sel_hi:[1,0,1]
	v_pk_fma_f16 v17, v153, v45, v17 op_sel:[0,1,0]
	v_pk_fma_f16 v41, v154, v45, v41 op_sel_hi:[1,0,1]
	v_pk_fma_f16 v18, v154, v45, v18 op_sel:[0,1,0]
	v_pk_fma_f16 v42, v155, v45, v42 op_sel_hi:[1,0,1]
	v_pk_fma_f16 v19, v155, v45, v19 op_sel:[0,1,0]
	v_pk_fma_f16 v36, v156, v46, v36 op_sel_hi:[1,0,1]
	v_pk_fma_f16 v12, v156, v46, v12 op_sel:[0,1,0]
	v_pk_fma_f16 v37, v157, v46, v37 op_sel_hi:[1,0,1]
	v_pk_fma_f16 v13, v157, v46, v13 op_sel:[0,1,0]
	v_pk_fma_f16 v32, v158, v46, v32 op_sel_hi:[1,0,1]
	v_pk_fma_f16 v14, v158, v46, v14 op_sel:[0,1,0]
	v_pk_fma_f16 v38, v159, v46, v38 op_sel_hi:[1,0,1]
	v_pk_fma_f16 v15, v159, v46, v15 op_sel:[0,1,0]
	v_pk_fma_f16 v39, v160, v46, v39 op_sel_hi:[1,0,1]
	v_pk_fma_f16 v16, v160, v46, v16 op_sel:[0,1,0]
	v_pk_fma_f16 v40, v161, v46, v40 op_sel_hi:[1,0,1]
	v_pk_fma_f16 v17, v161, v46, v17 op_sel:[0,1,0]
	v_pk_fma_f16 v41, v162, v46, v41 op_sel_hi:[1,0,1]
	v_pk_fma_f16 v18, v162, v46, v18 op_sel:[0,1,0]
	v_pk_fma_f16 v42, v163, v46, v42 op_sel_hi:[1,0,1]
	v_pk_fma_f16 v19, v163, v46, v19 op_sel:[0,1,0]
	v_pk_fma_f16 v36, v164, v47, v36 op_sel_hi:[1,0,1]
	v_pk_fma_f16 v12, v164, v47, v12 op_sel:[0,1,0]
	v_pk_fma_f16 v37, v165, v47, v37 op_sel_hi:[1,0,1]
	v_pk_fma_f16 v13, v165, v47, v13 op_sel:[0,1,0]
	v_pk_fma_f16 v32, v166, v47, v32 op_sel_hi:[1,0,1]
	v_pk_fma_f16 v14, v166, v47, v14 op_sel:[0,1,0]
	v_pk_fma_f16 v38, v167, v47, v38 op_sel_hi:[1,0,1]
	v_pk_fma_f16 v15, v167, v47, v15 op_sel:[0,1,0]
	v_pk_fma_f16 v39, v168, v47, v39 op_sel_hi:[1,0,1]
	v_pk_fma_f16 v16, v168, v47, v16 op_sel:[0,1,0]
	v_pk_fma_f16 v40, v169, v47, v40 op_sel_hi:[1,0,1]
	v_pk_fma_f16 v17, v169, v47, v17 op_sel:[0,1,0]
	v_pk_fma_f16 v41, v170, v47, v41 op_sel_hi:[1,0,1]
	v_pk_fma_f16 v18, v170, v47, v18 op_sel:[0,1,0]
	v_pk_fma_f16 v42, v171, v47, v42 op_sel_hi:[1,0,1]
	v_pk_fma_f16 v19, v171, v47, v19 op_sel:[0,1,0]
	v_pk_fma_f16 v36, v172, v0, v36 op_sel_hi:[1,0,1]
	v_pk_fma_f16 v12, v172, v0, v12 op_sel:[0,1,0]
	v_pk_fma_f16 v37, v173, v0, v37 op_sel_hi:[1,0,1]
	v_pk_fma_f16 v13, v173, v0, v13 op_sel:[0,1,0]
	v_pk_fma_f16 v32, v174, v0, v32 op_sel_hi:[1,0,1]
	v_pk_fma_f16 v14, v174, v0, v14 op_sel:[0,1,0]
	v_pk_fma_f16 v38, v175, v0, v38 op_sel_hi:[1,0,1]
	v_pk_fma_f16 v15, v175, v0, v15 op_sel:[0,1,0]
	v_pk_fma_f16 v39, v176, v0, v39 op_sel_hi:[1,0,1]
	v_pk_fma_f16 v16, v176, v0, v16 op_sel:[0,1,0]
	v_pk_fma_f16 v40, v177, v0, v40 op_sel_hi:[1,0,1]
	v_pk_fma_f16 v17, v177, v0, v17 op_sel:[0,1,0]
	v_pk_fma_f16 v41, v178, v0, v41 op_sel_hi:[1,0,1]
	v_pk_fma_f16 v18, v178, v0, v18 op_sel:[0,1,0]
	v_pk_fma_f16 v42, v179, v0, v42 op_sel_hi:[1,0,1]
	v_pk_fma_f16 v0, v179, v0, v19 op_sel:[0,1,0]
	s_waitcnt lgkmcnt(0)
	s_lshl_b32 s0, s0, 7
	v_pk_fma_f16 v19, v180, v1, v36 op_sel_hi:[1,0,1]
	v_pk_fma_f16 v12, v180, v1, v12 op_sel:[0,1,0]
	v_pk_fma_f16 v36, v181, v1, v37 op_sel_hi:[1,0,1]
	v_pk_fma_f16 v13, v181, v1, v13 op_sel:[0,1,0]
	;; [unrolled: 2-line block ×8, first 2 shown]
	s_add_i32 s26, s0, s26
	v_pk_fma_f16 v1, v188, v2, v19 op_sel_hi:[1,0,1]
	v_pk_fma_f16 v12, v188, v2, v12 op_sel:[0,1,0]
	v_pk_fma_f16 v19, v189, v2, v36 op_sel_hi:[1,0,1]
	v_pk_fma_f16 v13, v189, v2, v13 op_sel:[0,1,0]
	;; [unrolled: 2-line block ×8, first 2 shown]
	v_mov_b32_e32 v30, v34
	v_mov_b32_e32 v31, v35
	s_cmp_ge_i32 s26, s34
	v_pk_fma_f16 v97, v8, v3, v1 op_sel_hi:[1,0,1]
	v_pk_fma_f16 v96, v8, v3, v12 op_sel:[0,1,0]
	v_pk_fma_f16 v32, v9, v3, v19 op_sel_hi:[1,0,1]
	v_pk_fma_f16 v12, v9, v3, v13 op_sel:[0,1,0]
	;; [unrolled: 2-line block ×8, first 2 shown]
	s_cbranch_scc0 .LBB0_9
.LBB0_10:
	v_cmp_lt_i32_e32 vcc, v67, v62
	v_cndmask_b32_e32 v0, v25, v67, vcc
	v_lshlrev_b32_e32 v1, 2, v0
	ds_bpermute_b32 v0, v1, v22
	ds_bpermute_b32 v1, v1, v23
	v_cmp_lt_i32_e32 vcc, v66, v62
	v_cndmask_b32_e32 v2, v25, v66, vcc
	v_lshlrev_b32_e32 v3, 2, v2
	v_cmp_lt_i32_e32 vcc, v65, v62
	s_waitcnt lgkmcnt(0)
	v_pk_add_f32 v[0:1], v[22:23], v[0:1]
	ds_bpermute_b32 v2, v3, v0
	ds_bpermute_b32 v3, v3, v1
	v_cndmask_b32_e32 v4, v25, v65, vcc
	v_lshlrev_b32_e32 v4, 2, v4
	v_cmp_lt_i32_e32 vcc, v64, v62
	s_cmp_lg_u64 s[24:25], 0
	s_waitcnt lgkmcnt(0)
	v_pk_add_f32 v[0:1], v[0:1], v[2:3]
	ds_bpermute_b32 v2, v4, v0
	ds_bpermute_b32 v3, v4, v1
	v_cndmask_b32_e32 v4, v25, v64, vcc
	v_lshlrev_b32_e32 v4, 2, v4
	v_cmp_lt_i32_e32 vcc, v63, v62
	s_cselect_b64 s[0:1], -1, 0
	s_waitcnt lgkmcnt(0)
	v_pk_add_f32 v[0:1], v[0:1], v[2:3]
	ds_bpermute_b32 v2, v4, v0
	ds_bpermute_b32 v3, v4, v1
	v_cndmask_b32_e32 v4, v25, v63, vcc
	v_lshlrev_b32_e32 v4, 2, v4
	s_cmp_eq_u32 s7, 0
	s_cselect_b64 s[2:3], -1, 0
	s_waitcnt lgkmcnt(0)
	v_pk_add_f32 v[0:1], v[0:1], v[2:3]
	ds_bpermute_b32 v2, v4, v0
	ds_bpermute_b32 v3, v4, v1
	s_and_b64 s[0:1], s[2:3], s[0:1]
	s_and_b64 vcc, exec, s[0:1]
	s_waitcnt lgkmcnt(0)
	v_pk_add_f32 v[0:1], v[0:1], v[2:3]
	s_cbranch_vccz .LBB0_12
; %bb.11:
	v_add_u32_e32 v2, s35, v33
	v_ashrrev_i32_e32 v3, 31, v2
	v_lshlrev_b64 v[2:3], 2, v[2:3]
	v_mov_b32_e32 v4, s25
	v_add_co_u32_e32 v2, vcc, s24, v2
	v_addc_co_u32_e32 v3, vcc, v4, v3, vcc
	global_load_dwordx2 v[2:3], v[2:3], off
	v_max_f32_e32 v4, v35, v35
	v_max_f32_e32 v6, v34, v34
	s_mov_b32 s0, 0x3fb8aa3b
	s_mov_b32 s1, 0xc2ce8ed0
	;; [unrolled: 1-line block ×3, first 2 shown]
	v_mov_b32_e32 v22, 0x7f800000
	s_waitcnt vmcnt(0)
	v_max_f32_e32 v5, v3, v3
	v_max_f32_e32 v7, v2, v2
	v_max_f32_e32 v5, v4, v5
	v_max_f32_e32 v4, v6, v7
	v_pk_add_f32 v[6:7], v[34:35], v[4:5] neg_lo:[0,1] neg_hi:[0,1]
	v_mul_f32_e32 v23, 0x3fb8aa3b, v7
	v_pk_add_f32 v[2:3], v[2:3], v[4:5] neg_lo:[0,1] neg_hi:[0,1]
	v_mul_f32_e32 v24, 0x3fb8aa3b, v6
	v_fma_f32 v27, v7, s0, -v23
	v_rndne_f32_e32 v28, v23
	v_mul_f32_e32 v25, 0x3fb8aa3b, v3
	v_fma_f32 v29, v6, s0, -v24
	v_rndne_f32_e32 v30, v24
	v_fmac_f32_e32 v27, 0x32a5705f, v7
	v_sub_f32_e32 v23, v23, v28
	v_mul_f32_e32 v26, 0x3fb8aa3b, v2
	v_fma_f32 v31, v3, s0, -v25
	v_rndne_f32_e32 v34, v25
	v_fmac_f32_e32 v29, 0x32a5705f, v6
	v_sub_f32_e32 v24, v24, v30
	v_add_f32_e32 v23, v23, v27
	v_fma_f32 v35, v2, s0, -v26
	v_rndne_f32_e32 v36, v26
	v_cvt_i32_f32_e32 v28, v28
	v_fmac_f32_e32 v31, 0x32a5705f, v3
	v_sub_f32_e32 v25, v25, v34
	v_add_f32_e32 v24, v24, v29
	v_exp_f32_e32 v23, v23
	v_cvt_i32_f32_e32 v30, v30
	v_fmac_f32_e32 v35, 0x32a5705f, v2
	v_sub_f32_e32 v26, v26, v36
	v_add_f32_e32 v25, v25, v31
	v_exp_f32_e32 v24, v24
	v_cvt_i32_f32_e32 v34, v34
	v_add_f32_e32 v26, v26, v35
	v_exp_f32_e32 v25, v25
	v_cvt_i32_f32_e32 v36, v36
	v_exp_f32_e32 v26, v26
	v_ldexp_f32 v23, v23, v28
	v_cmp_ngt_f32_e32 vcc, s1, v7
	v_ldexp_f32 v24, v24, v30
	v_cndmask_b32_e32 v23, 0, v23, vcc
	v_cmp_ngt_f32_e32 vcc, s1, v6
	v_ldexp_f32 v25, v25, v34
	v_cndmask_b32_e32 v24, 0, v24, vcc
	;; [unrolled: 3-line block ×3, first 2 shown]
	v_cmp_ngt_f32_e32 vcc, s1, v2
	v_cndmask_b32_e32 v26, 0, v26, vcc
	v_cmp_nlt_f32_e32 vcc, s2, v7
	v_cndmask_b32_e32 v7, v22, v23, vcc
	v_cmp_nlt_f32_e32 vcc, s2, v6
	v_cndmask_b32_e32 v6, v22, v24, vcc
	v_cmp_nlt_f32_e32 vcc, s2, v3
	v_cndmask_b32_e32 v3, v22, v25, vcc
	v_cmp_nlt_f32_e32 vcc, s2, v2
	v_cndmask_b32_e32 v2, v22, v26, vcc
	v_cvt_f16_f32_e32 v23, v6
	v_pk_fma_f32 v[0:1], v[0:1], v[6:7], v[2:3]
	v_cvt_f16_f32_e32 v2, v7
	v_pk_mov_b32 v[34:35], v[4:5], v[4:5] op_sel:[0,1]
	v_pk_mul_f16 v97, v23, v97 op_sel_hi:[0,1]
	v_pk_mul_f16 v32, v23, v32 op_sel_hi:[0,1]
	;; [unrolled: 1-line block ×16, first 2 shown]
.LBB0_12:
	v_cmp_gt_i32_e32 vcc, s38, v21
	s_and_saveexec_b64 s[0:1], vcc
	s_cbranch_execz .LBB0_21
; %bb.13:
	s_load_dword s6, s[4:5], 0xd4
	v_mov_b32_e32 v4, 1.0
	s_waitcnt lgkmcnt(0)
	s_cmp_lg_u32 s6, 1
	s_cselect_b64 s[0:1], -1, 0
	s_cmp_eq_u32 s6, 1
	s_cselect_b64 s[2:3], -1, 0
	s_and_b64 vcc, exec, s[0:1]
	s_cbranch_vccnz .LBB0_15
; %bb.14:
	v_div_scale_f32 v2, s[4:5], v0, v0, 1.0
	v_rcp_f32_e32 v3, v2
	v_div_scale_f32 v4, vcc, 1.0, v0, 1.0
	v_fma_f32 v5, -v2, v3, 1.0
	v_fmac_f32_e32 v3, v5, v3
	v_mul_f32_e32 v5, v4, v3
	v_fma_f32 v6, -v2, v5, v4
	v_fmac_f32_e32 v5, v6, v3
	v_fma_f32 v2, -v2, v5, v4
	v_div_fmas_f32 v2, v2, v3, v5
	v_div_fixup_f32 v4, v2, v0, 1.0
.LBB0_15:
	s_mul_i32 s33, s33, s38
	v_add_u32_e32 v2, s33, v21
	v_mul_lo_u32 v2, v2, s39
	v_add3_u32 v2, s35, v33, v2
	v_mul_lo_u32 v2, s6, v2
	v_add_u32_e32 v2, s7, v2
	v_cvt_f32_f16_sdwa v23, v97 dst_sel:DWORD dst_unused:UNUSED_PAD src0_sel:WORD_1
	v_cvt_f32_f16_e32 v22, v97
	v_cvt_f32_f16_sdwa v25, v32 dst_sel:DWORD dst_unused:UNUSED_PAD src0_sel:WORD_1
	v_cvt_f32_f16_e32 v24, v32
	v_lshl_add_u32 v6, v2, 9, v61
	v_mov_b32_e32 v7, 0
	v_cmp_eq_u32_e32 vcc, 0, v20
	v_lshlrev_b64 v[20:21], 2, v[6:7]
	s_and_b64 s[0:1], vcc, s[0:1]
	v_mov_b32_e32 v3, s29
	v_add_co_u32_e32 v26, vcc, s28, v20
	v_addc_co_u32_e32 v27, vcc, v3, v21, vcc
	v_pk_mul_f32 v[20:21], v[4:5], v[22:23] op_sel_hi:[0,1]
	v_pk_mul_f32 v[22:23], v[4:5], v[24:25] op_sel_hi:[0,1]
	global_store_dwordx4 v[26:27], v[20:23], off
	v_cvt_f32_f16_sdwa v25, v18 dst_sel:DWORD dst_unused:UNUSED_PAD src0_sel:WORD_1
	v_cvt_f32_f16_sdwa v23, v98 dst_sel:DWORD dst_unused:UNUSED_PAD src0_sel:WORD_1
	v_cvt_f32_f16_e32 v22, v98
	v_cvt_f32_f16_e32 v24, v18
	v_add_u32_e32 v20, 0x80, v6
	v_mov_b32_e32 v21, v7
	v_lshlrev_b64 v[20:21], 2, v[20:21]
	v_add_co_u32_e32 v26, vcc, s28, v20
	v_addc_co_u32_e32 v27, vcc, v3, v21, vcc
	v_pk_mul_f32 v[20:21], v[4:5], v[22:23] op_sel_hi:[0,1]
	v_pk_mul_f32 v[22:23], v[4:5], v[24:25] op_sel_hi:[0,1]
	global_store_dwordx4 v[26:27], v[20:23], off
	v_cvt_f32_f16_sdwa v25, v16 dst_sel:DWORD dst_unused:UNUSED_PAD src0_sel:WORD_1
	v_cvt_f32_f16_sdwa v23, v19 dst_sel:DWORD dst_unused:UNUSED_PAD src0_sel:WORD_1
	v_cvt_f32_f16_e32 v22, v19
	v_cvt_f32_f16_e32 v24, v16
	v_add_u32_e32 v20, 0x100, v6
	v_mov_b32_e32 v21, v7
	v_lshlrev_b64 v[20:21], 2, v[20:21]
	v_add_co_u32_e32 v26, vcc, s28, v20
	v_addc_co_u32_e32 v27, vcc, v3, v21, vcc
	v_pk_mul_f32 v[18:19], v[4:5], v[22:23] op_sel_hi:[0,1]
	v_pk_mul_f32 v[20:21], v[4:5], v[24:25] op_sel_hi:[0,1]
	global_store_dwordx4 v[26:27], v[18:21], off
	v_add_u32_e32 v6, 0x180, v6
	v_cvt_f32_f16_sdwa v19, v17 dst_sel:DWORD dst_unused:UNUSED_PAD src0_sel:WORD_1
	v_cvt_f32_f16_e32 v18, v17
	v_cvt_f32_f16_sdwa v21, v14 dst_sel:DWORD dst_unused:UNUSED_PAD src0_sel:WORD_1
	v_cvt_f32_f16_e32 v20, v14
	v_lshlrev_b64 v[6:7], 2, v[6:7]
	v_add_co_u32_e32 v6, vcc, s28, v6
	v_addc_co_u32_e32 v7, vcc, v3, v7, vcc
	v_pk_mul_f32 v[16:17], v[4:5], v[18:19] op_sel_hi:[0,1]
	v_pk_mul_f32 v[18:19], v[4:5], v[20:21] op_sel_hi:[0,1]
	global_store_dwordx4 v[6:7], v[16:19], off
	s_and_saveexec_b64 s[4:5], s[0:1]
	s_cbranch_execz .LBB0_17
; %bb.16:
	v_ashrrev_i32_e32 v3, 31, v2
	v_lshlrev_b64 v[4:5], 3, v[2:3]
	v_mov_b32_e32 v3, s31
	v_add_co_u32_e32 v4, vcc, s30, v4
	v_addc_co_u32_e32 v5, vcc, v3, v5, vcc
	v_mov_b32_e32 v6, v34
	v_mov_b32_e32 v7, v0
	global_store_dwordx2 v[4:5], v[6:7], off
.LBB0_17:
	s_or_b64 exec, exec, s[4:5]
	s_andn2_b64 vcc, exec, s[2:3]
	v_mov_b32_e32 v0, 1.0
	s_cbranch_vccnz .LBB0_19
; %bb.18:
	v_div_scale_f32 v0, s[2:3], v1, v1, 1.0
	v_rcp_f32_e32 v3, v0
	v_div_scale_f32 v4, vcc, 1.0, v1, 1.0
	v_fma_f32 v5, -v0, v3, 1.0
	v_fmac_f32_e32 v3, v5, v3
	v_mul_f32_e32 v5, v4, v3
	v_fma_f32 v6, -v0, v5, v4
	v_fmac_f32_e32 v5, v6, v3
	v_fma_f32 v0, -v0, v5, v4
	v_div_fmas_f32 v0, v0, v3, v5
	v_div_fixup_f32 v0, v0, v1, 1.0
.LBB0_19:
	v_add_u32_e32 v2, s6, v2
	v_cvt_f32_f16_sdwa v7, v96 dst_sel:DWORD dst_unused:UNUSED_PAD src0_sel:WORD_1
	v_cvt_f32_f16_e32 v6, v96
	v_cvt_f32_f16_sdwa v19, v12 dst_sel:DWORD dst_unused:UNUSED_PAD src0_sel:WORD_1
	v_cvt_f32_f16_e32 v18, v12
	v_lshl_add_u32 v16, v2, 9, v61
	v_mov_b32_e32 v17, 0
	v_lshlrev_b64 v[4:5], 2, v[16:17]
	v_mov_b32_e32 v3, s29
	v_add_co_u32_e32 v20, vcc, s28, v4
	v_addc_co_u32_e32 v21, vcc, v3, v5, vcc
	v_pk_mul_f32 v[4:5], v[0:1], v[6:7] op_sel_hi:[0,1]
	v_pk_mul_f32 v[6:7], v[0:1], v[18:19] op_sel_hi:[0,1]
	global_store_dwordx4 v[20:21], v[4:7], off
	v_cvt_f32_f16_e32 v14, v10
	v_cvt_f32_f16_sdwa v7, v15 dst_sel:DWORD dst_unused:UNUSED_PAD src0_sel:WORD_1
	v_cvt_f32_f16_e32 v6, v15
	v_cvt_f32_f16_sdwa v15, v10 dst_sel:DWORD dst_unused:UNUSED_PAD src0_sel:WORD_1
	v_add_u32_e32 v4, 0x80, v16
	v_mov_b32_e32 v5, v17
	v_lshlrev_b64 v[4:5], 2, v[4:5]
	v_add_co_u32_e32 v18, vcc, s28, v4
	v_addc_co_u32_e32 v19, vcc, v3, v5, vcc
	v_pk_mul_f32 v[4:5], v[0:1], v[6:7] op_sel_hi:[0,1]
	v_pk_mul_f32 v[6:7], v[0:1], v[14:15] op_sel_hi:[0,1]
	global_store_dwordx4 v[18:19], v[4:7], off
	v_cvt_f32_f16_e32 v12, v8
	v_cvt_f32_f16_sdwa v7, v13 dst_sel:DWORD dst_unused:UNUSED_PAD src0_sel:WORD_1
	v_cvt_f32_f16_e32 v6, v13
	v_cvt_f32_f16_sdwa v13, v8 dst_sel:DWORD dst_unused:UNUSED_PAD src0_sel:WORD_1
	v_add_u32_e32 v4, 0x100, v16
	v_mov_b32_e32 v5, v17
	v_lshlrev_b64 v[4:5], 2, v[4:5]
	v_add_co_u32_e32 v14, vcc, s28, v4
	v_addc_co_u32_e32 v15, vcc, v3, v5, vcc
	v_pk_mul_f32 v[4:5], v[0:1], v[6:7] op_sel_hi:[0,1]
	v_pk_mul_f32 v[6:7], v[0:1], v[12:13] op_sel_hi:[0,1]
	global_store_dwordx4 v[14:15], v[4:7], off
	v_cvt_f32_f16_e32 v10, v9
	v_cvt_f32_f16_sdwa v7, v11 dst_sel:DWORD dst_unused:UNUSED_PAD src0_sel:WORD_1
	v_cvt_f32_f16_e32 v6, v11
	v_cvt_f32_f16_sdwa v11, v9 dst_sel:DWORD dst_unused:UNUSED_PAD src0_sel:WORD_1
	v_add_u32_e32 v16, 0x180, v16
	v_lshlrev_b64 v[4:5], 2, v[16:17]
	v_add_co_u32_e32 v8, vcc, s28, v4
	v_addc_co_u32_e32 v9, vcc, v3, v5, vcc
	v_pk_mul_f32 v[4:5], v[0:1], v[6:7] op_sel_hi:[0,1]
	v_pk_mul_f32 v[6:7], v[0:1], v[10:11] op_sel_hi:[0,1]
	global_store_dwordx4 v[8:9], v[4:7], off
	s_and_b64 exec, exec, s[0:1]
	s_cbranch_execz .LBB0_21
; %bb.20:
	v_ashrrev_i32_e32 v3, 31, v2
	v_lshlrev_b64 v[2:3], 3, v[2:3]
	v_mov_b32_e32 v0, s31
	v_add_co_u32_e32 v2, vcc, s30, v2
	v_addc_co_u32_e32 v3, vcc, v0, v3, vcc
	v_mov_b32_e32 v0, v35
	global_store_dwordx2 v[2:3], v[0:1], off
.LBB0_21:
	s_endpgm
	.section	.rodata,"a",@progbits
	.p2align	6, 0x0
	.amdhsa_kernel _ZL15flash_attn_tileILi512ELi512ELi4ELi8ELb0EEvPKcS1_S1_S1_S1_PKiPfP15HIP_vector_typeIfLj2EEffffjfiS5_IjLj3EEiiiiiiiiiiiliiliiiiil
		.amdhsa_group_segment_fixed_size 59392
		.amdhsa_private_segment_fixed_size 0
		.amdhsa_kernarg_size 464
		.amdhsa_user_sgpr_count 6
		.amdhsa_user_sgpr_private_segment_buffer 1
		.amdhsa_user_sgpr_dispatch_ptr 0
		.amdhsa_user_sgpr_queue_ptr 0
		.amdhsa_user_sgpr_kernarg_segment_ptr 1
		.amdhsa_user_sgpr_dispatch_id 0
		.amdhsa_user_sgpr_flat_scratch_init 0
		.amdhsa_user_sgpr_kernarg_preload_length 0
		.amdhsa_user_sgpr_kernarg_preload_offset 0
		.amdhsa_user_sgpr_private_segment_size 0
		.amdhsa_uses_dynamic_stack 0
		.amdhsa_system_sgpr_private_segment_wavefront_offset 0
		.amdhsa_system_sgpr_workgroup_id_x 1
		.amdhsa_system_sgpr_workgroup_id_y 1
		.amdhsa_system_sgpr_workgroup_id_z 1
		.amdhsa_system_sgpr_workgroup_info 0
		.amdhsa_system_vgpr_workitem_id 1
		.amdhsa_next_free_vgpr 234
		.amdhsa_next_free_sgpr 46
		.amdhsa_accum_offset 236
		.amdhsa_reserve_vcc 1
		.amdhsa_reserve_flat_scratch 0
		.amdhsa_float_round_mode_32 0
		.amdhsa_float_round_mode_16_64 0
		.amdhsa_float_denorm_mode_32 3
		.amdhsa_float_denorm_mode_16_64 3
		.amdhsa_dx10_clamp 1
		.amdhsa_ieee_mode 1
		.amdhsa_fp16_overflow 0
		.amdhsa_tg_split 0
		.amdhsa_exception_fp_ieee_invalid_op 0
		.amdhsa_exception_fp_denorm_src 0
		.amdhsa_exception_fp_ieee_div_zero 0
		.amdhsa_exception_fp_ieee_overflow 0
		.amdhsa_exception_fp_ieee_underflow 0
		.amdhsa_exception_fp_ieee_inexact 0
		.amdhsa_exception_int_div_zero 0
	.end_amdhsa_kernel
	.section	.text._ZL15flash_attn_tileILi512ELi512ELi4ELi8ELb0EEvPKcS1_S1_S1_S1_PKiPfP15HIP_vector_typeIfLj2EEffffjfiS5_IjLj3EEiiiiiiiiiiiliiliiiiil,"axG",@progbits,_ZL15flash_attn_tileILi512ELi512ELi4ELi8ELb0EEvPKcS1_S1_S1_S1_PKiPfP15HIP_vector_typeIfLj2EEffffjfiS5_IjLj3EEiiiiiiiiiiiliiliiiiil,comdat
.Lfunc_end0:
	.size	_ZL15flash_attn_tileILi512ELi512ELi4ELi8ELb0EEvPKcS1_S1_S1_S1_PKiPfP15HIP_vector_typeIfLj2EEffffjfiS5_IjLj3EEiiiiiiiiiiiliiliiiiil, .Lfunc_end0-_ZL15flash_attn_tileILi512ELi512ELi4ELi8ELb0EEvPKcS1_S1_S1_S1_PKiPfP15HIP_vector_typeIfLj2EEffffjfiS5_IjLj3EEiiiiiiiiiiiliiliiiiil
                                        ; -- End function
	.section	.AMDGPU.csdata,"",@progbits
; Kernel info:
; codeLenInByte = 45548
; NumSgprs: 50
; NumVgprs: 234
; NumAgprs: 0
; TotalNumVgprs: 234
; ScratchSize: 0
; MemoryBound: 0
; FloatMode: 240
; IeeeMode: 1
; LDSByteSize: 59392 bytes/workgroup (compile time only)
; SGPRBlocks: 6
; VGPRBlocks: 29
; NumSGPRsForWavesPerEU: 50
; NumVGPRsForWavesPerEU: 234
; AccumOffset: 236
; Occupancy: 2
; WaveLimiterHint : 1
; COMPUTE_PGM_RSRC2:SCRATCH_EN: 0
; COMPUTE_PGM_RSRC2:USER_SGPR: 6
; COMPUTE_PGM_RSRC2:TRAP_HANDLER: 0
; COMPUTE_PGM_RSRC2:TGID_X_EN: 1
; COMPUTE_PGM_RSRC2:TGID_Y_EN: 1
; COMPUTE_PGM_RSRC2:TGID_Z_EN: 1
; COMPUTE_PGM_RSRC2:TIDIG_COMP_CNT: 1
; COMPUTE_PGM_RSRC3_GFX90A:ACCUM_OFFSET: 58
; COMPUTE_PGM_RSRC3_GFX90A:TG_SPLIT: 0
	.section	.text._ZL25flash_attn_mask_to_KV_maxILi4EEvPK7__half2Piiii,"axG",@progbits,_ZL25flash_attn_mask_to_KV_maxILi4EEvPK7__half2Piiii,comdat
	.globl	_ZL25flash_attn_mask_to_KV_maxILi4EEvPK7__half2Piiii ; -- Begin function _ZL25flash_attn_mask_to_KV_maxILi4EEvPK7__half2Piiii
	.p2align	8
	.type	_ZL25flash_attn_mask_to_KV_maxILi4EEvPK7__half2Piiii,@function
_ZL25flash_attn_mask_to_KV_maxILi4EEvPK7__half2Piiii: ; @_ZL25flash_attn_mask_to_KV_maxILi4EEvPK7__half2Piiii
; %bb.0:
	s_load_dwordx4 s[8:11], s[4:5], 0x0
	v_cmp_gt_u32_e32 vcc, 32, v0
	s_and_saveexec_b64 s[0:1], vcc
	s_cbranch_execz .LBB1_2
; %bb.1:
	v_lshlrev_b32_e32 v1, 2, v0
	v_mov_b32_e32 v2, 1
	ds_write_b32 v1, v2
.LBB1_2:
	s_or_b64 exec, exec, s[0:1]
	s_load_dwordx4 s[12:15], s[4:5], 0x10
	s_load_dword s24, s[4:5], 0x20
	v_and_b32_e32 v2, 31, v0
	v_lshlrev_b32_e32 v6, 2, v2
	v_lshrrev_b32_e32 v1, 3, v0
	s_waitcnt lgkmcnt(0)
	s_mul_i32 s1, s6, s13
	s_mul_i32 s0, s7, s14
	s_lshl_b32 s1, s1, 2
	s_add_i32 s0, s0, s1
	s_ashr_i32 s1, s0, 31
	s_lshl_b64 s[0:1], s[0:1], 2
	s_add_u32 s25, s8, s0
	s_addc_u32 s26, s9, s1
	v_cmp_eq_u32_e64 s[0:1], 0, v2
	v_mbcnt_lo_u32_b32 v2, -1, 0
	v_mbcnt_hi_u32_b32 v7, -1, v2
	v_and_b32_e32 v2, 0x60, v7
	s_lshl_b32 s12, s12, 8
	s_mov_b64 s[4:5], 0
	v_mov_b32_e32 v3, 0
	s_movk_i32 s27, 0x204
	s_movk_i32 s28, 0x7fff
	;; [unrolled: 1-line block ×3, first 2 shown]
	v_add_u32_e32 v8, 32, v2
	v_xor_b32_e32 v9, 16, v7
	v_xor_b32_e32 v10, 8, v7
	;; [unrolled: 1-line block ×5, first 2 shown]
	s_barrier
	s_waitcnt lgkmcnt(0)
                                        ; implicit-def: $sgpr2_sgpr3
	s_branch .LBB1_5
.LBB1_3:                                ;   in Loop: Header=BB1_5 Depth=1
	s_or_b64 exec, exec, s[8:9]
	s_waitcnt lgkmcnt(0)
	s_barrier
	ds_read_b32 v16, v6
	s_waitcnt lgkmcnt(0)
	s_barrier
	ds_bpermute_b32 v2, v2, v16
	v_cmp_ne_u32_e32 vcc, 0, v16
	s_waitcnt lgkmcnt(0)
	v_cmp_ne_u32_e64 s[2:3], 0, v2
	s_and_b64 s[2:3], vcc, s[2:3]
	v_cndmask_b32_e64 v2, 0, 1, s[2:3]
	ds_bpermute_b32 v2, v4, v2
	s_waitcnt lgkmcnt(0)
	v_cmp_ne_u32_e32 vcc, 0, v2
	s_and_b64 s[2:3], vcc, s[2:3]
	v_cndmask_b32_e64 v2, 0, 1, s[2:3]
	ds_bpermute_b32 v2, v5, v2
	s_waitcnt lgkmcnt(0)
	v_cmp_ne_u32_e32 vcc, 0, v2
	;; [unrolled: 5-line block ×3, first 2 shown]
	s_and_b64 s[2:3], vcc, s[2:3]
	v_cndmask_b32_e64 v2, 0, 1, s[2:3]
	ds_bpermute_b32 v2, v15, v2
	s_xor_b64 s[2:3], s[2:3], -1
	s_waitcnt lgkmcnt(0)
	v_cmp_eq_u32_e32 vcc, 0, v2
	s_or_b64 s[2:3], vcc, s[2:3]
.LBB1_4:                                ;   in Loop: Header=BB1_5 Depth=1
	s_and_b64 s[8:9], exec, s[2:3]
	s_or_b64 s[4:5], s[8:9], s[4:5]
	v_mov_b32_e32 v2, s12
	s_mov_b32 s12, s30
	s_andn2_b64 exec, exec, s[4:5]
	s_cbranch_execz .LBB1_20
.LBB1_5:                                ; =>This Inner Loop Header: Depth=1
	s_add_i32 s30, s12, 0xffffff00
	s_or_b64 s[2:3], s[2:3], exec
	s_cmp_lt_i32 s30, 0
	s_cbranch_scc1 .LBB1_4
; %bb.6:                                ;   in Loop: Header=BB1_5 Depth=1
	s_lshr_b32 s2, s30, 1
	v_add_u32_e32 v2, s2, v0
	v_lshlrev_b64 v[4:5], 2, v[2:3]
	v_mov_b32_e32 v14, s26
	v_add_co_u32_e32 v4, vcc, s25, v4
	v_addc_co_u32_e32 v5, vcc, v14, v5, vcc
	global_load_dword v4, v[4:5], off
	s_mov_b64 s[8:9], 0
	s_waitcnt vmcnt(0)
	v_cmp_class_f16_e64 s[2:3], v4, s27
	v_and_b32_sdwa v4, s28, v4 dst_sel:DWORD dst_unused:UNUSED_PAD src0_sel:DWORD src1_sel:WORD_1
	v_cmp_eq_f16_e32 vcc, s29, v4
	s_and_b64 s[14:15], s[2:3], vcc
	s_and_saveexec_b64 s[2:3], s[14:15]
	s_cbranch_execz .LBB1_18
; %bb.7:                                ;   in Loop: Header=BB1_5 Depth=1
	v_add_u32_e32 v4, s13, v2
	v_ashrrev_i32_e32 v5, 31, v4
	v_lshlrev_b64 v[14:15], 2, v[4:5]
	v_mov_b32_e32 v2, s26
	v_add_co_u32_e32 v14, vcc, s25, v14
	v_addc_co_u32_e32 v15, vcc, v2, v15, vcc
	global_load_dword v2, v[14:15], off
	s_mov_b64 s[14:15], 0
	s_waitcnt vmcnt(0)
	v_cmp_class_f16_e64 s[16:17], v2, s27
	s_and_saveexec_b64 s[8:9], s[16:17]
	s_cbranch_execz .LBB1_17
; %bb.8:                                ;   in Loop: Header=BB1_5 Depth=1
	v_cmp_class_f16_sdwa s[18:19], v2, s27 src0_sel:WORD_1 src1_sel:DWORD
	s_mov_b64 s[16:17], 0
	s_and_saveexec_b64 s[14:15], s[18:19]
	s_cbranch_execz .LBB1_16
; %bb.9:                                ;   in Loop: Header=BB1_5 Depth=1
	v_add_u32_e32 v4, s13, v4
	v_ashrrev_i32_e32 v5, 31, v4
	v_lshlrev_b64 v[14:15], 2, v[4:5]
	v_mov_b32_e32 v2, s26
	v_add_co_u32_e32 v14, vcc, s25, v14
	v_addc_co_u32_e32 v15, vcc, v2, v15, vcc
	global_load_dword v2, v[14:15], off
	s_mov_b64 s[18:19], 0
	s_waitcnt vmcnt(0)
	v_cmp_class_f16_e64 s[20:21], v2, s27
	s_and_saveexec_b64 s[16:17], s[20:21]
	s_cbranch_execz .LBB1_15
; %bb.10:                               ;   in Loop: Header=BB1_5 Depth=1
	v_cmp_class_f16_sdwa s[22:23], v2, s27 src0_sel:WORD_1 src1_sel:DWORD
	s_mov_b64 s[20:21], 0
	s_and_saveexec_b64 s[18:19], s[22:23]
	s_cbranch_execz .LBB1_14
; %bb.11:                               ;   in Loop: Header=BB1_5 Depth=1
	v_add_u32_e32 v4, s13, v4
	v_ashrrev_i32_e32 v5, 31, v4
	v_lshlrev_b64 v[4:5], 2, v[4:5]
	v_mov_b32_e32 v2, s26
	v_add_co_u32_e32 v4, vcc, s25, v4
	v_addc_co_u32_e32 v5, vcc, v2, v5, vcc
	global_load_dword v2, v[4:5], off
	s_waitcnt vmcnt(0)
	v_cmp_class_f16_e64 s[34:35], v2, s27
	s_and_saveexec_b64 s[22:23], s[34:35]
; %bb.12:                               ;   in Loop: Header=BB1_5 Depth=1
	v_cmp_class_f16_sdwa s[20:21], v2, s27 src0_sel:WORD_1 src1_sel:DWORD
	s_and_b64 s[20:21], s[20:21], exec
; %bb.13:                               ;   in Loop: Header=BB1_5 Depth=1
	s_or_b64 exec, exec, s[22:23]
	s_and_b64 s[20:21], s[20:21], exec
.LBB1_14:                               ;   in Loop: Header=BB1_5 Depth=1
	s_or_b64 exec, exec, s[18:19]
	s_and_b64 s[18:19], s[20:21], exec
.LBB1_15:                               ;   in Loop: Header=BB1_5 Depth=1
	s_or_b64 exec, exec, s[16:17]
	s_and_b64 s[16:17], s[18:19], exec
.LBB1_16:                               ;   in Loop: Header=BB1_5 Depth=1
	s_or_b64 exec, exec, s[14:15]
	s_and_b64 s[14:15], s[16:17], exec
.LBB1_17:                               ;   in Loop: Header=BB1_5 Depth=1
	s_or_b64 exec, exec, s[8:9]
	s_and_b64 s[8:9], s[14:15], exec
.LBB1_18:                               ;   in Loop: Header=BB1_5 Depth=1
	s_or_b64 exec, exec, s[2:3]
	v_cmp_lt_i32_e32 vcc, v9, v8
	v_cndmask_b32_e32 v2, v7, v9, vcc
	v_cndmask_b32_e64 v4, 0, 1, s[8:9]
	v_lshlrev_b32_e32 v2, 2, v2
	ds_bpermute_b32 v4, v2, v4
	s_waitcnt lgkmcnt(0)
	v_cmp_ne_u32_e32 vcc, 0, v4
	s_and_b64 s[2:3], s[8:9], vcc
	v_cmp_lt_i32_e32 vcc, v10, v8
	v_cndmask_b32_e32 v4, v7, v10, vcc
	v_cndmask_b32_e64 v5, 0, 1, s[2:3]
	v_lshlrev_b32_e32 v4, 2, v4
	ds_bpermute_b32 v5, v4, v5
	s_waitcnt lgkmcnt(0)
	v_cmp_ne_u32_e32 vcc, 0, v5
	s_and_b64 s[2:3], vcc, s[2:3]
	v_cmp_lt_i32_e32 vcc, v11, v8
	v_cndmask_b32_e32 v5, v7, v11, vcc
	v_cndmask_b32_e64 v14, 0, 1, s[2:3]
	v_lshlrev_b32_e32 v5, 2, v5
	ds_bpermute_b32 v14, v5, v14
	s_waitcnt lgkmcnt(0)
	v_cmp_ne_u32_e32 vcc, 0, v14
	s_and_b64 s[2:3], vcc, s[2:3]
	v_cmp_lt_i32_e32 vcc, v12, v8
	v_cndmask_b32_e32 v14, v7, v12, vcc
	v_cndmask_b32_e64 v15, 0, 1, s[2:3]
	v_lshlrev_b32_e32 v14, 2, v14
	ds_bpermute_b32 v15, v14, v15
	s_waitcnt lgkmcnt(0)
	v_cmp_ne_u32_e32 vcc, 0, v15
	s_and_b64 s[2:3], vcc, s[2:3]
	v_cmp_lt_i32_e32 vcc, v13, v8
	v_cndmask_b32_e32 v15, v7, v13, vcc
	v_cndmask_b32_e64 v16, 0, 1, s[2:3]
	v_lshlrev_b32_e32 v15, 2, v15
	ds_bpermute_b32 v16, v15, v16
	s_and_saveexec_b64 s[8:9], s[0:1]
	s_cbranch_execz .LBB1_3
; %bb.19:                               ;   in Loop: Header=BB1_5 Depth=1
	s_waitcnt lgkmcnt(0)
	v_cmp_ne_u32_e32 vcc, 0, v16
	s_and_b64 s[2:3], vcc, s[2:3]
	v_cndmask_b32_e64 v16, 0, 1, s[2:3]
	ds_write_b32 v1, v16
	s_branch .LBB1_3
.LBB1_20:
	s_or_b64 exec, exec, s[4:5]
	v_cmp_eq_u32_e32 vcc, 0, v0
	s_and_saveexec_b64 s[0:1], vcc
	s_cbranch_execz .LBB1_22
; %bb.21:
	s_mul_i32 s0, s24, s7
	s_add_i32 s0, s0, s6
	s_ashr_i32 s1, s0, 31
	s_lshl_b64 s[0:1], s[0:1], 2
	s_add_u32 s0, s10, s0
	s_addc_u32 s1, s11, s1
	v_mov_b32_e32 v0, 0
	global_store_dword v0, v2, s[0:1]
.LBB1_22:
	s_endpgm
	.section	.rodata,"a",@progbits
	.p2align	6, 0x0
	.amdhsa_kernel _ZL25flash_attn_mask_to_KV_maxILi4EEvPK7__half2Piiii
		.amdhsa_group_segment_fixed_size 128
		.amdhsa_private_segment_fixed_size 0
		.amdhsa_kernarg_size 288
		.amdhsa_user_sgpr_count 6
		.amdhsa_user_sgpr_private_segment_buffer 1
		.amdhsa_user_sgpr_dispatch_ptr 0
		.amdhsa_user_sgpr_queue_ptr 0
		.amdhsa_user_sgpr_kernarg_segment_ptr 1
		.amdhsa_user_sgpr_dispatch_id 0
		.amdhsa_user_sgpr_flat_scratch_init 0
		.amdhsa_user_sgpr_kernarg_preload_length 0
		.amdhsa_user_sgpr_kernarg_preload_offset 0
		.amdhsa_user_sgpr_private_segment_size 0
		.amdhsa_uses_dynamic_stack 0
		.amdhsa_system_sgpr_private_segment_wavefront_offset 0
		.amdhsa_system_sgpr_workgroup_id_x 1
		.amdhsa_system_sgpr_workgroup_id_y 1
		.amdhsa_system_sgpr_workgroup_id_z 0
		.amdhsa_system_sgpr_workgroup_info 0
		.amdhsa_system_vgpr_workitem_id 0
		.amdhsa_next_free_vgpr 17
		.amdhsa_next_free_sgpr 36
		.amdhsa_accum_offset 20
		.amdhsa_reserve_vcc 1
		.amdhsa_reserve_flat_scratch 0
		.amdhsa_float_round_mode_32 0
		.amdhsa_float_round_mode_16_64 0
		.amdhsa_float_denorm_mode_32 3
		.amdhsa_float_denorm_mode_16_64 3
		.amdhsa_dx10_clamp 1
		.amdhsa_ieee_mode 1
		.amdhsa_fp16_overflow 0
		.amdhsa_tg_split 0
		.amdhsa_exception_fp_ieee_invalid_op 0
		.amdhsa_exception_fp_denorm_src 0
		.amdhsa_exception_fp_ieee_div_zero 0
		.amdhsa_exception_fp_ieee_overflow 0
		.amdhsa_exception_fp_ieee_underflow 0
		.amdhsa_exception_fp_ieee_inexact 0
		.amdhsa_exception_int_div_zero 0
	.end_amdhsa_kernel
	.section	.text._ZL25flash_attn_mask_to_KV_maxILi4EEvPK7__half2Piiii,"axG",@progbits,_ZL25flash_attn_mask_to_KV_maxILi4EEvPK7__half2Piiii,comdat
.Lfunc_end1:
	.size	_ZL25flash_attn_mask_to_KV_maxILi4EEvPK7__half2Piiii, .Lfunc_end1-_ZL25flash_attn_mask_to_KV_maxILi4EEvPK7__half2Piiii
                                        ; -- End function
	.section	.AMDGPU.csdata,"",@progbits
; Kernel info:
; codeLenInByte = 1040
; NumSgprs: 40
; NumVgprs: 17
; NumAgprs: 0
; TotalNumVgprs: 17
; ScratchSize: 0
; MemoryBound: 0
; FloatMode: 240
; IeeeMode: 1
; LDSByteSize: 128 bytes/workgroup (compile time only)
; SGPRBlocks: 4
; VGPRBlocks: 2
; NumSGPRsForWavesPerEU: 40
; NumVGPRsForWavesPerEU: 17
; AccumOffset: 20
; Occupancy: 8
; WaveLimiterHint : 0
; COMPUTE_PGM_RSRC2:SCRATCH_EN: 0
; COMPUTE_PGM_RSRC2:USER_SGPR: 6
; COMPUTE_PGM_RSRC2:TRAP_HANDLER: 0
; COMPUTE_PGM_RSRC2:TGID_X_EN: 1
; COMPUTE_PGM_RSRC2:TGID_Y_EN: 1
; COMPUTE_PGM_RSRC2:TGID_Z_EN: 0
; COMPUTE_PGM_RSRC2:TIDIG_COMP_CNT: 0
; COMPUTE_PGM_RSRC3_GFX90A:ACCUM_OFFSET: 4
; COMPUTE_PGM_RSRC3_GFX90A:TG_SPLIT: 0
	.section	.text._ZL33flash_attn_stream_k_fixup_uniformILi512ELi4ELi8EEvPfPK15HIP_vector_typeIfLj2EEiiiiiiS1_IjLj3EES5_S5_,"axG",@progbits,_ZL33flash_attn_stream_k_fixup_uniformILi512ELi4ELi8EEvPfPK15HIP_vector_typeIfLj2EEiiiiiiS1_IjLj3EES5_S5_,comdat
	.globl	_ZL33flash_attn_stream_k_fixup_uniformILi512ELi4ELi8EEvPfPK15HIP_vector_typeIfLj2EEiiiiiiS1_IjLj3EES5_S5_ ; -- Begin function _ZL33flash_attn_stream_k_fixup_uniformILi512ELi4ELi8EEvPfPK15HIP_vector_typeIfLj2EEiiiiiiS1_IjLj3EES5_S5_
	.p2align	8
	.type	_ZL33flash_attn_stream_k_fixup_uniformILi512ELi4ELi8EEvPfPK15HIP_vector_typeIfLj2EEiiiiiiS1_IjLj3EES5_S5_,@function
_ZL33flash_attn_stream_k_fixup_uniformILi512ELi4ELi8EEvPfPK15HIP_vector_typeIfLj2EEiiiiiiS1_IjLj3EES5_S5_: ; @_ZL33flash_attn_stream_k_fixup_uniformILi512ELi4ELi8EEvPfPK15HIP_vector_typeIfLj2EEiiiiiiS1_IjLj3EES5_S5_
; %bb.0:
	s_load_dwordx8 s[12:19], s[4:5], 0x1c
	s_load_dwordx2 s[10:11], s[4:5], 0x10
	s_load_dwordx4 s[0:3], s[4:5], 0x3c
	s_waitcnt lgkmcnt(0)
	s_mul_hi_u32 s9, s15, s6
	s_add_i32 s9, s6, s9
	s_lshr_b32 s9, s9, s16
	s_mul_i32 s15, s9, s17
	s_sub_i32 s15, s6, s15
	s_mul_hi_u32 s16, s15, s18
	s_add_i32 s16, s15, s16
	s_lshr_b32 s16, s16, s19
	s_mul_i32 s0, s16, s0
	s_sub_i32 s0, s15, s0
	;; [unrolled: 5-line block ×3, first 2 shown]
	s_lshl_b32 s0, s17, 2
	s_lshl_b32 s15, s1, 3
	s_add_i32 s0, s0, s7
	s_cmp_lt_i32 s0, s10
	s_cselect_b64 s[0:1], -1, 0
	s_add_i32 s2, s15, s8
	s_cmp_lt_i32 s2, s13
	s_cselect_b64 s[2:3], -1, 0
	s_and_b64 s[0:1], s[0:1], s[2:3]
	s_andn2_b64 vcc, exec, s[0:1]
	s_cbranch_vccnz .LBB2_6
; %bb.1:
	s_load_dwordx4 s[0:3], s[4:5], 0x0
	s_mul_i32 s4, s9, s10
	s_add_i32 s4, s4, s7
	s_mul_i32 s4, s4, s11
	s_mul_i32 s16, s16, s13
	s_add_i32 s4, s4, s8
	s_add_i32 s4, s4, s16
	s_mul_i32 s5, s11, s17
	s_add_i32 s4, s4, s15
	s_lshl_b32 s5, s5, 11
	s_lshl_b32 s4, s4, 9
	s_add_i32 s5, s5, s4
	v_or_b32_e32 v2, s5, v0
	v_ashrrev_i32_e32 v3, 31, v2
	v_lshlrev_b64 v[2:3], 2, v[2:3]
	s_waitcnt lgkmcnt(0)
	v_mov_b32_e32 v1, s1
	v_add_co_u32_e32 v2, vcc, s0, v2
	v_addc_co_u32_e32 v3, vcc, v1, v3, vcc
	global_load_dword v8, v[2:3], off
	s_mul_i32 s9, s6, s14
	s_lshl_b32 s4, s7, 3
	s_add_i32 s11, s9, s14
	s_add_i32 s0, s4, s8
	s_lshl_b32 s1, s11, 5
	s_add_i32 s0, s0, s1
	s_sub_i32 s0, s0, 32
	s_ashr_i32 s1, s0, 31
	s_lshl_b64 s[0:1], s[0:1], 3
	s_add_u32 s0, s2, s0
	s_addc_u32 s1, s3, s1
	s_load_dword s5, s[0:1], 0x4
	s_add_i32 s10, s11, -2
	s_cmp_lt_i32 s10, s9
	s_cbranch_scc1 .LBB2_4
; %bb.2:
	s_lshl_b32 s16, s12, 7
	s_ashr_i32 s17, s16, 31
	s_lshl_b64 s[16:17], s[16:17], 2
	s_add_u32 s10, s2, s16
	s_addc_u32 s13, s3, s17
	s_add_i32 s6, s6, 1
	s_load_dword s0, s[0:1], 0x0
	s_mul_i32 s1, s14, s6
	s_lshl_b32 s7, s7, 12
	s_lshl_b32 s14, s8, 9
	;; [unrolled: 1-line block ×3, first 2 shown]
	s_add_i32 s7, s14, s7
	s_lshl_b32 s1, s1, 5
	s_add_i32 s7, s7, s6
	s_add_i32 s1, s8, s1
	s_lshl_b32 s6, s12, 5
	s_add_i32 s1, s1, s6
	v_or_b32_e32 v0, s7, v0
	s_add_i32 s1, s1, s4
	s_add_i32 s11, s11, -1
	v_add_u32_e32 v0, 0xffff8000, v0
	s_sub_i32 s4, s1, 64
	s_waitcnt lgkmcnt(0)
	v_mov_b32_e32 v7, s5
	v_mov_b32_e32 v6, s0
	;; [unrolled: 1-line block ×3, first 2 shown]
	s_mov_b32 s6, 0x3fb8aa3b
	s_mov_b32 s7, 0xc2ce8ed0
	;; [unrolled: 1-line block ×3, first 2 shown]
	v_mov_b32_e32 v5, 0x7f800000
	s_mov_b32 s12, 0xc1a00000
.LBB2_3:                                ; =>This Inner Loop Header: Depth=1
	v_ashrrev_i32_e32 v1, 31, v0
	v_lshlrev_b64 v[10:11], 2, v[0:1]
	v_add_co_u32_e32 v10, vcc, s10, v10
	v_addc_co_u32_e32 v11, vcc, v4, v11, vcc
	global_load_dword v1, v[10:11], off
	s_ashr_i32 s5, s4, 31
	s_lshl_b64 s[0:1], s[4:5], 3
	s_add_u32 s0, s2, s0
	s_addc_u32 s1, s3, s1
	s_load_dwordx2 s[14:15], s[0:1], 0x0
	s_waitcnt vmcnt(1)
	v_mov_b32_e32 v9, v8
	v_max_f32_e32 v8, v6, v6
	v_mov_b32_e32 v10, v7
	s_add_i32 s11, s11, -1
	s_waitcnt lgkmcnt(0)
	v_max_f32_e64 v7, s14, s14
	v_max_f32_e32 v7, v8, v7
	v_sub_f32_e32 v11, s14, v7
	v_sub_f32_e32 v8, v6, v7
	v_mul_f32_e32 v12, 0x3fb8aa3b, v11
	v_mov_b32_e32 v6, v7
	v_mul_f32_e32 v7, 0x3fb8aa3b, v8
	v_fma_f32 v15, v11, s6, -v12
	v_rndne_f32_e32 v16, v12
	v_fma_f32 v13, v8, s6, -v7
	v_rndne_f32_e32 v14, v7
	v_fmac_f32_e32 v15, 0x32a5705f, v11
	v_sub_f32_e32 v12, v12, v16
	v_fmac_f32_e32 v13, 0x32a5705f, v8
	v_sub_f32_e32 v7, v7, v14
	v_add_f32_e32 v12, v12, v15
	v_cvt_i32_f32_e32 v16, v16
	v_add_f32_e32 v7, v7, v13
	v_exp_f32_e32 v12, v12
	v_cvt_i32_f32_e32 v14, v14
	v_exp_f32_e32 v7, v7
	v_cmp_ngt_f32_e32 vcc, s7, v11
	v_ldexp_f32 v12, v12, v16
	v_cmp_ngt_f32_e64 s[0:1], s7, v8
	v_ldexp_f32 v7, v7, v14
	v_cndmask_b32_e32 v12, 0, v12, vcc
	v_cmp_nlt_f32_e32 vcc, s8, v11
	v_cndmask_b32_e64 v7, 0, v7, s[0:1]
	v_cmp_nlt_f32_e64 s[0:1], s8, v8
	v_cndmask_b32_e32 v12, v5, v12, vcc
	v_cmp_le_f32_e32 vcc, s12, v11
	v_cndmask_b32_e64 v7, v5, v7, s[0:1]
	v_cmp_le_f32_e64 s[0:1], s12, v8
	v_cndmask_b32_e32 v8, 0, v12, vcc
	s_sub_i32 s4, s4, 32
	v_cndmask_b32_e64 v11, 0, v7, s[0:1]
	v_mul_f32_e32 v7, s15, v8
	v_add_u32_e32 v0, 0xffffc000, v0
	s_cmp_le_i32 s11, s9
	v_fmac_f32_e32 v7, v10, v11
	s_waitcnt vmcnt(0)
	v_mul_f32_e32 v8, v1, v8
	v_fmac_f32_e32 v8, v9, v11
	s_cbranch_scc0 .LBB2_3
	s_branch .LBB2_5
.LBB2_4:
	s_waitcnt lgkmcnt(0)
	v_mov_b32_e32 v7, s5
.LBB2_5:
	s_waitcnt vmcnt(0)
	v_div_scale_f32 v0, s[0:1], v7, v7, v8
	v_rcp_f32_e32 v1, v0
	v_div_scale_f32 v4, vcc, v8, v7, v8
	v_fma_f32 v5, -v0, v1, 1.0
	v_fmac_f32_e32 v1, v5, v1
	v_mul_f32_e32 v5, v4, v1
	v_fma_f32 v6, -v0, v5, v4
	v_fmac_f32_e32 v5, v6, v1
	v_fma_f32 v0, -v0, v5, v4
	v_div_fmas_f32 v0, v0, v1, v5
	v_div_fixup_f32 v0, v0, v7, v8
	global_store_dword v[2:3], v0, off
.LBB2_6:
	s_endpgm
	.section	.rodata,"a",@progbits
	.p2align	6, 0x0
	.amdhsa_kernel _ZL33flash_attn_stream_k_fixup_uniformILi512ELi4ELi8EEvPfPK15HIP_vector_typeIfLj2EEiiiiiiS1_IjLj3EES5_S5_
		.amdhsa_group_segment_fixed_size 0
		.amdhsa_private_segment_fixed_size 0
		.amdhsa_kernarg_size 76
		.amdhsa_user_sgpr_count 6
		.amdhsa_user_sgpr_private_segment_buffer 1
		.amdhsa_user_sgpr_dispatch_ptr 0
		.amdhsa_user_sgpr_queue_ptr 0
		.amdhsa_user_sgpr_kernarg_segment_ptr 1
		.amdhsa_user_sgpr_dispatch_id 0
		.amdhsa_user_sgpr_flat_scratch_init 0
		.amdhsa_user_sgpr_kernarg_preload_length 0
		.amdhsa_user_sgpr_kernarg_preload_offset 0
		.amdhsa_user_sgpr_private_segment_size 0
		.amdhsa_uses_dynamic_stack 0
		.amdhsa_system_sgpr_private_segment_wavefront_offset 0
		.amdhsa_system_sgpr_workgroup_id_x 1
		.amdhsa_system_sgpr_workgroup_id_y 1
		.amdhsa_system_sgpr_workgroup_id_z 1
		.amdhsa_system_sgpr_workgroup_info 0
		.amdhsa_system_vgpr_workitem_id 0
		.amdhsa_next_free_vgpr 17
		.amdhsa_next_free_sgpr 20
		.amdhsa_accum_offset 20
		.amdhsa_reserve_vcc 1
		.amdhsa_reserve_flat_scratch 0
		.amdhsa_float_round_mode_32 0
		.amdhsa_float_round_mode_16_64 0
		.amdhsa_float_denorm_mode_32 3
		.amdhsa_float_denorm_mode_16_64 3
		.amdhsa_dx10_clamp 1
		.amdhsa_ieee_mode 1
		.amdhsa_fp16_overflow 0
		.amdhsa_tg_split 0
		.amdhsa_exception_fp_ieee_invalid_op 0
		.amdhsa_exception_fp_denorm_src 0
		.amdhsa_exception_fp_ieee_div_zero 0
		.amdhsa_exception_fp_ieee_overflow 0
		.amdhsa_exception_fp_ieee_underflow 0
		.amdhsa_exception_fp_ieee_inexact 0
		.amdhsa_exception_int_div_zero 0
	.end_amdhsa_kernel
	.section	.text._ZL33flash_attn_stream_k_fixup_uniformILi512ELi4ELi8EEvPfPK15HIP_vector_typeIfLj2EEiiiiiiS1_IjLj3EES5_S5_,"axG",@progbits,_ZL33flash_attn_stream_k_fixup_uniformILi512ELi4ELi8EEvPfPK15HIP_vector_typeIfLj2EEiiiiiiS1_IjLj3EES5_S5_,comdat
.Lfunc_end2:
	.size	_ZL33flash_attn_stream_k_fixup_uniformILi512ELi4ELi8EEvPfPK15HIP_vector_typeIfLj2EEiiiiiiS1_IjLj3EES5_S5_, .Lfunc_end2-_ZL33flash_attn_stream_k_fixup_uniformILi512ELi4ELi8EEvPfPK15HIP_vector_typeIfLj2EEiiiiiiS1_IjLj3EES5_S5_
                                        ; -- End function
	.section	.AMDGPU.csdata,"",@progbits
; Kernel info:
; codeLenInByte = 856
; NumSgprs: 24
; NumVgprs: 17
; NumAgprs: 0
; TotalNumVgprs: 17
; ScratchSize: 0
; MemoryBound: 0
; FloatMode: 240
; IeeeMode: 1
; LDSByteSize: 0 bytes/workgroup (compile time only)
; SGPRBlocks: 2
; VGPRBlocks: 2
; NumSGPRsForWavesPerEU: 24
; NumVGPRsForWavesPerEU: 17
; AccumOffset: 20
; Occupancy: 8
; WaveLimiterHint : 0
; COMPUTE_PGM_RSRC2:SCRATCH_EN: 0
; COMPUTE_PGM_RSRC2:USER_SGPR: 6
; COMPUTE_PGM_RSRC2:TRAP_HANDLER: 0
; COMPUTE_PGM_RSRC2:TGID_X_EN: 1
; COMPUTE_PGM_RSRC2:TGID_Y_EN: 1
; COMPUTE_PGM_RSRC2:TGID_Z_EN: 1
; COMPUTE_PGM_RSRC2:TIDIG_COMP_CNT: 0
; COMPUTE_PGM_RSRC3_GFX90A:ACCUM_OFFSET: 4
; COMPUTE_PGM_RSRC3_GFX90A:TG_SPLIT: 0
	.section	.text._ZL33flash_attn_stream_k_fixup_generalILi512ELi4ELi8EEvPfPK15HIP_vector_typeIfLj2EEiiiiS1_IjLj3EES5_S5_S5_,"axG",@progbits,_ZL33flash_attn_stream_k_fixup_generalILi512ELi4ELi8EEvPfPK15HIP_vector_typeIfLj2EEiiiiS1_IjLj3EES5_S5_S5_,comdat
	.globl	_ZL33flash_attn_stream_k_fixup_generalILi512ELi4ELi8EEvPfPK15HIP_vector_typeIfLj2EEiiiiS1_IjLj3EES5_S5_S5_ ; -- Begin function _ZL33flash_attn_stream_k_fixup_generalILi512ELi4ELi8EEvPfPK15HIP_vector_typeIfLj2EEiiiiS1_IjLj3EES5_S5_S5_
	.p2align	8
	.type	_ZL33flash_attn_stream_k_fixup_generalILi512ELi4ELi8EEvPfPK15HIP_vector_typeIfLj2EEiiiiS1_IjLj3EES5_S5_S5_,@function
_ZL33flash_attn_stream_k_fixup_generalILi512ELi4ELi8EEvPfPK15HIP_vector_typeIfLj2EEiiiiS1_IjLj3EES5_S5_S5_: ; @_ZL33flash_attn_stream_k_fixup_generalILi512ELi4ELi8EEvPfPK15HIP_vector_typeIfLj2EEiiiiS1_IjLj3EES5_S5_S5_
; %bb.0:
	s_load_dwordx4 s[12:15], s[4:5], 0x10
	s_load_dword s9, s[4:5], 0x50
	s_mov_b32 s2, 0
	s_waitcnt lgkmcnt(0)
	s_mul_hi_i32 s3, s15, s6
	s_cmp_lg_u64 s[2:3], 0
	s_mul_i32 s2, s15, s6
	s_cbranch_scc0 .LBB3_21
; %bb.1:
	v_cvt_f32_u32_e32 v1, s9
	v_cvt_f32_ubyte0_e32 v2, 0
	s_sub_u32 s10, 0, s9
	s_subb_u32 s11, 0, 0
	v_madmk_f32 v1, v2, 0x4f800000, v1
	v_rcp_f32_e32 v1, v1
	v_mul_f32_e32 v1, 0x5f7ffffc, v1
	v_mul_f32_e32 v2, 0x2f800000, v1
	v_trunc_f32_e32 v2, v2
	v_madmk_f32 v1, v2, 0xcf800000, v1
	v_cvt_u32_f32_e32 v2, v2
	v_cvt_u32_f32_e32 v1, v1
	v_readfirstlane_b32 s16, v2
	v_readfirstlane_b32 s17, v1
	s_mul_i32 s18, s10, s16
	s_mul_hi_u32 s20, s10, s17
	s_mul_i32 s19, s11, s17
	s_add_i32 s18, s20, s18
	s_add_i32 s18, s18, s19
	s_mul_i32 s21, s10, s17
	s_mul_hi_u32 s19, s17, s18
	s_mul_i32 s20, s17, s18
	s_mul_hi_u32 s17, s17, s21
	s_add_u32 s17, s17, s20
	s_addc_u32 s19, 0, s19
	s_mul_hi_u32 s22, s16, s21
	s_mul_i32 s21, s16, s21
	s_add_u32 s17, s17, s21
	s_mul_hi_u32 s20, s16, s18
	s_addc_u32 s17, s19, s22
	s_addc_u32 s19, s20, 0
	s_mul_i32 s18, s16, s18
	s_add_u32 s17, s17, s18
	s_addc_u32 s18, 0, s19
	v_add_co_u32_e32 v1, vcc, s17, v1
	s_cmp_lg_u64 vcc, 0
	s_addc_u32 s16, s16, s18
	v_readfirstlane_b32 s18, v1
	s_mul_i32 s17, s10, s16
	s_mul_hi_u32 s19, s10, s18
	s_add_i32 s17, s19, s17
	s_mul_i32 s11, s11, s18
	s_add_i32 s17, s17, s11
	s_mul_i32 s10, s10, s18
	s_mul_hi_u32 s19, s16, s10
	s_mul_i32 s20, s16, s10
	s_mul_i32 s22, s18, s17
	s_mul_hi_u32 s10, s18, s10
	s_mul_hi_u32 s21, s18, s17
	s_add_u32 s10, s10, s22
	s_addc_u32 s18, 0, s21
	s_add_u32 s10, s10, s20
	s_mul_hi_u32 s11, s16, s17
	s_addc_u32 s10, s18, s19
	s_addc_u32 s11, s11, 0
	s_mul_i32 s17, s16, s17
	s_add_u32 s10, s10, s17
	s_addc_u32 s11, 0, s11
	v_add_co_u32_e32 v1, vcc, s10, v1
	s_cmp_lg_u64 vcc, 0
	s_addc_u32 s18, s16, s11
	s_ashr_i32 s10, s3, 31
	s_add_u32 s16, s2, s10
	s_mov_b32 s11, s10
	s_addc_u32 s17, s3, s10
	s_xor_b64 s[16:17], s[16:17], s[10:11]
	v_readfirstlane_b32 s20, v1
	s_mul_i32 s19, s16, s18
	s_mul_hi_u32 s21, s16, s20
	s_mul_hi_u32 s3, s16, s18
	s_add_u32 s19, s21, s19
	s_addc_u32 s3, 0, s3
	s_mul_hi_u32 s22, s17, s20
	s_mul_i32 s20, s17, s20
	s_add_u32 s19, s19, s20
	s_mul_hi_u32 s21, s17, s18
	s_addc_u32 s3, s3, s22
	s_addc_u32 s19, s21, 0
	s_mul_i32 s18, s17, s18
	s_add_u32 s3, s3, s18
	s_addc_u32 s18, 0, s19
	s_add_u32 s19, s3, 1
	s_addc_u32 s20, s18, 0
	s_add_u32 s21, s3, 2
	s_mul_i32 s23, s9, s18
	s_mul_hi_u32 s24, s9, s3
	s_addc_u32 s22, s18, 0
	s_add_i32 s24, s24, s23
	s_mul_i32 s23, s9, s3
	v_mov_b32_e32 v1, s23
	v_sub_co_u32_e32 v1, vcc, s16, v1
	s_cmp_lg_u64 vcc, 0
	s_subb_u32 s16, s17, s24
	v_subrev_co_u32_e32 v2, vcc, s9, v1
	s_cmp_lg_u64 vcc, 0
	s_subb_u32 s17, s16, 0
	v_readfirstlane_b32 s23, v2
	s_cmp_ge_u32 s23, s9
	s_cselect_b32 s23, -1, 0
	s_cmp_eq_u32 s17, 0
	s_cselect_b32 s17, s23, -1
	s_cmp_lg_u32 s17, 0
	s_cselect_b32 s17, s22, s20
	v_readfirstlane_b32 s20, v1
	s_cselect_b32 s19, s21, s19
	s_cmp_ge_u32 s20, s9
	s_cselect_b32 s20, -1, 0
	s_cmp_eq_u32 s16, 0
	s_cselect_b32 s16, s20, -1
	s_cmp_lg_u32 s16, 0
	s_cselect_b32 s17, s17, s18
	s_cselect_b32 s16, s19, s3
	s_xor_b64 s[16:17], s[16:17], s[10:11]
	s_sub_u32 s20, s16, s10
	s_load_dwordx4 s[16:19], s[4:5], 0x44
	s_cbranch_execnz .LBB3_3
.LBB3_2:
	v_cvt_f32_u32_e32 v1, s9
	s_sub_i32 s0, 0, s9
	v_rcp_iflag_f32_e32 v1, v1
	v_mul_f32_e32 v1, 0x4f7ffffe, v1
	v_cvt_u32_f32_e32 v1, v1
	v_readfirstlane_b32 s1, v1
	s_mul_i32 s0, s0, s1
	s_mul_hi_u32 s0, s1, s0
	s_add_i32 s1, s1, s0
	s_mul_hi_u32 s0, s2, s1
	s_mul_i32 s3, s0, s9
	s_sub_i32 s2, s2, s3
	s_add_i32 s1, s0, 1
	s_sub_i32 s3, s2, s9
	s_cmp_ge_u32 s2, s9
	s_cselect_b32 s0, s1, s0
	s_cselect_b32 s2, s3, s2
	s_add_i32 s1, s0, 1
	s_cmp_ge_u32 s2, s9
	s_cselect_b32 s20, s1, s0
.LBB3_3:
	s_add_i32 s0, s6, 1
	s_mul_hi_i32 s3, s15, s0
	s_mov_b32 s2, 0
	s_cmp_lg_u64 s[2:3], 0
	s_mul_i32 s2, s15, s0
	s_cbranch_scc0 .LBB3_22
; %bb.4:
	v_cvt_f32_u32_e32 v1, s9
	v_cvt_f32_ubyte0_e32 v2, 0
	s_sub_u32 s10, 0, s9
	s_subb_u32 s11, 0, 0
	v_madmk_f32 v1, v2, 0x4f800000, v1
	v_rcp_f32_e32 v1, v1
	v_mul_f32_e32 v1, 0x5f7ffffc, v1
	v_mul_f32_e32 v2, 0x2f800000, v1
	v_trunc_f32_e32 v2, v2
	v_madmk_f32 v1, v2, 0xcf800000, v1
	v_cvt_u32_f32_e32 v2, v2
	v_cvt_u32_f32_e32 v1, v1
	s_waitcnt lgkmcnt(0)
	v_readfirstlane_b32 s19, v2
	v_readfirstlane_b32 s21, v1
	s_mul_i32 s22, s10, s19
	s_mul_hi_u32 s24, s10, s21
	s_mul_i32 s23, s11, s21
	s_add_i32 s22, s24, s22
	s_add_i32 s22, s22, s23
	s_mul_i32 s25, s10, s21
	s_mul_hi_u32 s23, s21, s22
	s_mul_i32 s24, s21, s22
	s_mul_hi_u32 s21, s21, s25
	s_add_u32 s21, s21, s24
	s_addc_u32 s23, 0, s23
	s_mul_hi_u32 s26, s19, s25
	s_mul_i32 s25, s19, s25
	s_add_u32 s21, s21, s25
	s_mul_hi_u32 s24, s19, s22
	s_addc_u32 s21, s23, s26
	s_addc_u32 s23, s24, 0
	s_mul_i32 s22, s19, s22
	s_add_u32 s21, s21, s22
	s_addc_u32 s22, 0, s23
	v_add_co_u32_e32 v1, vcc, s21, v1
	s_cmp_lg_u64 vcc, 0
	s_addc_u32 s19, s19, s22
	v_readfirstlane_b32 s22, v1
	s_mul_i32 s21, s10, s19
	s_mul_hi_u32 s23, s10, s22
	s_add_i32 s21, s23, s21
	s_mul_i32 s11, s11, s22
	s_add_i32 s21, s21, s11
	s_mul_i32 s10, s10, s22
	s_mul_hi_u32 s23, s19, s10
	s_mul_i32 s24, s19, s10
	s_mul_i32 s26, s22, s21
	s_mul_hi_u32 s10, s22, s10
	s_mul_hi_u32 s25, s22, s21
	s_add_u32 s10, s10, s26
	s_addc_u32 s22, 0, s25
	s_add_u32 s10, s10, s24
	s_mul_hi_u32 s11, s19, s21
	s_addc_u32 s10, s22, s23
	s_addc_u32 s11, s11, 0
	s_mul_i32 s21, s19, s21
	s_add_u32 s10, s10, s21
	s_addc_u32 s11, 0, s11
	v_add_co_u32_e32 v1, vcc, s10, v1
	s_cmp_lg_u64 vcc, 0
	s_addc_u32 s19, s19, s11
	s_ashr_i32 s10, s3, 31
	s_add_u32 s22, s2, s10
	s_mov_b32 s11, s10
	s_addc_u32 s23, s3, s10
	s_xor_b64 s[22:23], s[22:23], s[10:11]
	v_readfirstlane_b32 s21, v1
	s_mul_i32 s11, s22, s19
	s_mul_hi_u32 s24, s22, s21
	s_mul_hi_u32 s3, s22, s19
	s_add_u32 s11, s24, s11
	s_addc_u32 s3, 0, s3
	s_mul_hi_u32 s25, s23, s21
	s_mul_i32 s21, s23, s21
	s_add_u32 s11, s11, s21
	s_mul_hi_u32 s24, s23, s19
	s_addc_u32 s3, s3, s25
	s_addc_u32 s11, s24, 0
	s_mul_i32 s19, s23, s19
	s_add_u32 s3, s3, s19
	s_addc_u32 s11, 0, s11
	s_mul_i32 s11, s9, s11
	s_mul_hi_u32 s24, s9, s3
	s_add_i32 s24, s24, s11
	s_mul_i32 s11, s9, s3
	v_mov_b32_e32 v1, s11
	s_add_u32 s19, s3, 1
	s_add_u32 s21, s3, 2
	v_sub_co_u32_e32 v1, vcc, s22, v1
	s_cmp_lg_u64 vcc, 0
	s_subb_u32 s11, s23, s24
	v_subrev_co_u32_e32 v2, vcc, s9, v1
	s_cmp_lg_u64 vcc, 0
	s_subb_u32 s22, s11, 0
	v_cmp_le_u32_e32 vcc, s9, v2
	s_cmp_eq_u32 s22, 0
	v_cndmask_b32_e64 v2, 0, -1, vcc
	s_cselect_b64 vcc, -1, 0
	v_cndmask_b32_e32 v2, -1, v2, vcc
	v_mov_b32_e32 v3, s19
	v_mov_b32_e32 v4, s21
	v_cmp_ne_u32_e32 vcc, 0, v2
	v_cndmask_b32_e32 v2, v3, v4, vcc
	v_cmp_le_u32_e32 vcc, s9, v1
	s_cmp_eq_u32 s11, 0
	v_cndmask_b32_e64 v1, 0, -1, vcc
	s_cselect_b64 vcc, -1, 0
	v_cndmask_b32_e32 v1, -1, v1, vcc
	v_mov_b32_e32 v3, s3
	v_cmp_ne_u32_e32 vcc, 0, v1
	v_cndmask_b32_e32 v1, v3, v2, vcc
	v_xor_b32_e32 v1, s10, v1
	v_subrev_co_u32_e32 v2, vcc, s10, v1
	s_cbranch_execnz .LBB3_6
.LBB3_5:
	v_cvt_f32_u32_e32 v1, s9
	s_sub_i32 s0, 0, s9
	s_mov_b32 s1, 0
	v_rcp_iflag_f32_e32 v1, v1
	v_mul_f32_e32 v1, 0x4f7ffffe, v1
	v_cvt_u32_f32_e32 v1, v1
	v_readfirstlane_b32 s3, v1
	s_mul_i32 s0, s0, s3
	s_mul_hi_u32 s0, s3, s0
	s_add_i32 s3, s3, s0
	s_mul_hi_u32 s0, s2, s3
	s_mul_i32 s10, s0, s9
	s_sub_i32 s2, s2, s10
	s_add_i32 s3, s0, 1
	s_sub_i32 s10, s2, s9
	s_cmp_ge_u32 s2, s9
	s_cselect_b32 s0, s3, s0
	s_cselect_b32 s2, s10, s2
	s_add_i32 s3, s0, 1
	s_cmp_ge_u32 s2, s9
	s_cselect_b32 s0, s3, s0
	v_pk_mov_b32 v[2:3], s[0:1], s[0:1] op_sel:[0,1]
.LBB3_6:
	s_waitcnt lgkmcnt(0)
	s_mul_hi_u32 s0, s20, s16
	s_add_i32 s0, s0, s20
	v_mul_hi_u32 v1, v2, s16
	s_lshr_b32 s19, s0, s17
	v_add_u32_e32 v1, v1, v2
	s_mul_i32 s0, s19, s18
	v_lshrrev_b32_e32 v1, s17, v1
	s_cmp_eq_u32 s0, s20
	v_cmp_eq_u32_e64 s[0:1], s19, v1
	v_mul_lo_u32 v1, v1, s18
	v_cmp_eq_u32_e32 vcc, s20, v2
	s_cselect_b64 s[10:11], -1, 0
	v_cmp_ne_u32_e64 s[2:3], v1, v2
	s_and_b64 s[0:1], s[0:1], s[2:3]
	s_or_b64 s[2:3], vcc, s[10:11]
	s_or_b64 s[0:1], s[2:3], s[0:1]
	s_and_b64 vcc, exec, s[0:1]
	s_cbranch_vccnz .LBB3_24
; %bb.7:
	s_load_dwordx8 s[24:31], s[4:5], 0x20
	s_load_dword s0, s[4:5], 0x40
	s_mov_b32 s10, 0
	s_waitcnt lgkmcnt(0)
	s_mul_hi_u32 s1, s20, s24
	s_add_i32 s1, s1, s20
	s_lshr_b32 s11, s1, s25
	s_mul_i32 s1, s11, s26
	s_sub_i32 s1, s20, s1
	s_mul_hi_u32 s2, s1, s27
	s_add_i32 s2, s1, s2
	s_lshr_b32 s24, s2, s28
	s_mul_i32 s2, s24, s29
	s_sub_i32 s1, s1, s2
	;; [unrolled: 5-line block ×3, first 2 shown]
	s_mul_hi_u32 s1, s0, s16
	s_add_i32 s0, s0, s1
	s_lshr_b32 s26, s0, s17
	s_lshl_b32 s0, s26, 2
	s_lshl_b32 s25, s2, 3
	s_add_i32 s0, s0, s7
	s_cmp_lt_i32 s0, s12
	s_cselect_b64 s[0:1], -1, 0
	s_add_i32 s2, s25, s8
	s_cmp_lt_i32 s2, s14
	s_cselect_b64 s[2:3], -1, 0
	s_and_b64 s[0:1], s[0:1], s[2:3]
	s_andn2_b64 vcc, exec, s[0:1]
	s_cbranch_vccnz .LBB3_24
; %bb.8:
	s_load_dwordx4 s[0:3], s[4:5], 0x0
	s_lshl_b32 s21, s7, 3
	s_lshl_b32 s4, s9, 7
	s_mov_b32 s5, s10
	s_add_i32 s21, s21, s8
	s_lshl_b64 s[4:5], s[4:5], 2
	s_waitcnt lgkmcnt(0)
	s_add_u32 s22, s2, s4
	s_mul_i32 s4, s11, s12
	s_addc_u32 s23, s3, s5
	s_add_i32 s4, s4, s7
	s_mul_i32 s4, s4, s13
	s_mul_i32 s24, s24, s14
	s_add_i32 s4, s4, s8
	s_add_i32 s4, s4, s24
	s_mul_i32 s5, s13, s26
	s_add_i32 s4, s4, s25
	s_lshl_b32 s5, s5, 11
	s_lshl_b32 s4, s4, 9
	s_add_i32 s5, s5, s4
	v_or_b32_e32 v2, s5, v0
	v_ashrrev_i32_e32 v3, 31, v2
	v_lshlrev_b64 v[2:3], 2, v[2:3]
	v_mov_b32_e32 v1, s1
	v_add_co_u32_e32 v2, vcc, s0, v2
	v_addc_co_u32_e32 v3, vcc, v1, v3, vcc
	global_load_dword v5, v[2:3], off
	v_lshl_or_b32 v4, s21, 9, v0
	v_cvt_f32_u32_e32 v0, s9
	v_cvt_f32_ubyte0_e32 v1, 0
	s_lshl_b32 s0, s6, 5
	s_add_i32 s0, s21, s0
	v_mac_f32_e32 v0, 0x4f800000, v1
	v_rcp_f32_e32 v0, v0
	v_cvt_f32_u32_e32 v1, s9
	s_ashr_i32 s1, s0, 31
	s_lshl_b64 s[0:1], s[0:1], 3
	v_mul_f32_e32 v0, 0x5f7ffffc, v0
	v_rcp_iflag_f32_e32 v1, v1
	s_add_u32 s0, s2, s0
	v_mul_f32_e32 v9, 0x2f800000, v0
	s_addc_u32 s1, s3, s1
	v_trunc_f32_e32 v10, v9
	s_load_dwordx2 s[0:1], s[0:1], 0x0
	v_mac_f32_e32 v0, 0xcf800000, v10
	v_cvt_u32_f32_e32 v9, v0
	v_mul_f32_e32 v0, 0x4f7ffffe, v1
	v_cvt_u32_f32_e32 v10, v10
	v_cvt_u32_f32_e32 v11, v0
	s_add_i32 s8, s6, -1
	s_waitcnt lgkmcnt(0)
	v_mov_b32_e32 v6, s1
	v_mov_b32_e32 v7, s0
	;; [unrolled: 1-line block ×3, first 2 shown]
	s_mov_b32 s6, 0x3fb8aa3b
	s_mov_b32 s7, 0xc2ce8ed0
	;; [unrolled: 1-line block ×4, first 2 shown]
	v_mov_b32_e32 v12, 0x7f800000
	s_mul_hi_i32 s11, s8, s15
	s_cmp_lg_u64 s[10:11], 0
	s_mul_i32 s4, s8, s15
	s_cbranch_scc0 .LBB3_15
.LBB3_9:
	s_sub_u32 s0, 0, s9
	v_readfirstlane_b32 s5, v9
	v_readfirstlane_b32 s24, v10
	s_subb_u32 s1, 0, 0
	s_mul_hi_u32 s20, s0, s5
	s_mul_i32 s25, s0, s24
	s_mul_i32 s14, s1, s5
	s_add_i32 s20, s20, s25
	s_add_i32 s20, s20, s14
	s_mul_i32 s26, s0, s5
	s_mul_hi_u32 s14, s5, s20
	s_mul_i32 s25, s5, s20
	s_mul_hi_u32 s5, s5, s26
	s_add_u32 s5, s5, s25
	s_addc_u32 s14, 0, s14
	s_mul_hi_u32 s27, s24, s26
	s_mul_i32 s26, s24, s26
	s_add_u32 s5, s5, s26
	s_mul_hi_u32 s25, s24, s20
	s_addc_u32 s5, s14, s27
	s_addc_u32 s14, s25, 0
	s_mul_i32 s20, s24, s20
	s_add_u32 s5, s5, s20
	s_addc_u32 s14, 0, s14
	v_add_co_u32_e32 v0, vcc, s5, v9
	s_cmp_lg_u64 vcc, 0
	s_addc_u32 s5, s24, s14
	v_readfirstlane_b32 s20, v0
	s_mul_i32 s14, s0, s5
	s_mul_hi_u32 s24, s0, s20
	s_add_i32 s14, s24, s14
	s_mul_i32 s1, s1, s20
	s_add_i32 s14, s14, s1
	s_mul_i32 s0, s0, s20
	s_mul_hi_u32 s24, s5, s0
	s_mul_i32 s25, s5, s0
	s_mul_i32 s27, s20, s14
	s_mul_hi_u32 s0, s20, s0
	s_mul_hi_u32 s26, s20, s14
	s_add_u32 s0, s0, s27
	s_addc_u32 s20, 0, s26
	s_add_u32 s0, s0, s25
	s_mul_hi_u32 s1, s5, s14
	s_addc_u32 s0, s20, s24
	s_addc_u32 s1, s1, 0
	s_mul_i32 s14, s5, s14
	s_add_u32 s0, s0, s14
	s_addc_u32 s1, 0, s1
	v_add_co_u32_e32 v0, vcc, s0, v0
	s_cmp_lg_u64 vcc, 0
	s_addc_u32 s5, s5, s1
	s_ashr_i32 s0, s11, 31
	s_add_u32 s24, s4, s0
	s_mov_b32 s1, s0
	s_addc_u32 s25, s11, s0
	s_xor_b64 s[24:25], s[24:25], s[0:1]
	v_readfirstlane_b32 s14, v0
	s_mul_i32 s11, s24, s5
	s_mul_hi_u32 s20, s24, s14
	s_mul_hi_u32 s1, s24, s5
	s_add_u32 s11, s20, s11
	s_addc_u32 s1, 0, s1
	s_mul_hi_u32 s26, s25, s14
	s_mul_i32 s14, s25, s14
	s_add_u32 s11, s11, s14
	s_mul_hi_u32 s20, s25, s5
	s_addc_u32 s1, s1, s26
	s_addc_u32 s11, s20, 0
	s_mul_i32 s5, s25, s5
	s_add_u32 s1, s1, s5
	s_addc_u32 s5, 0, s11
	s_mul_i32 s5, s9, s5
	s_mul_hi_u32 s20, s9, s1
	s_add_i32 s20, s20, s5
	s_mul_i32 s5, s9, s1
	v_mov_b32_e32 v0, s5
	s_add_u32 s11, s1, 1
	s_add_u32 s14, s1, 2
	v_sub_co_u32_e32 v0, vcc, s24, v0
	s_cmp_lg_u64 vcc, 0
	s_subb_u32 s5, s25, s20
	v_subrev_co_u32_e32 v1, vcc, s9, v0
	s_cmp_lg_u64 vcc, 0
	s_subb_u32 s20, s5, 0
	v_cmp_le_u32_e32 vcc, s9, v1
	s_cmp_eq_u32 s20, 0
	v_cndmask_b32_e64 v1, 0, -1, vcc
	s_cselect_b64 vcc, -1, 0
	v_cndmask_b32_e32 v1, -1, v1, vcc
	v_mov_b32_e32 v13, s11
	v_mov_b32_e32 v14, s14
	v_cmp_ne_u32_e32 vcc, 0, v1
	v_cndmask_b32_e32 v1, v13, v14, vcc
	v_cmp_le_u32_e32 vcc, s9, v0
	s_cmp_eq_u32 s5, 0
	v_cndmask_b32_e64 v0, 0, -1, vcc
	s_cselect_b64 vcc, -1, 0
	v_cndmask_b32_e32 v0, -1, v0, vcc
	v_mov_b32_e32 v13, s1
	v_cmp_ne_u32_e32 vcc, 0, v0
	v_cndmask_b32_e32 v0, v13, v1, vcc
	v_xor_b32_e32 v0, s0, v0
	v_subrev_co_u32_e32 v0, vcc, s0, v0
	s_cbranch_execnz .LBB3_11
.LBB3_10:
	s_sub_i32 s0, 0, s9
	v_mul_lo_u32 v0, s0, v11
	v_mul_hi_u32 v0, v11, v0
	v_add_u32_e32 v0, v11, v0
	v_mul_hi_u32 v0, s4, v0
	v_mul_lo_u32 v13, v0, s9
	v_sub_u32_e32 v13, s4, v13
	v_add_u32_e32 v1, 1, v0
	v_subrev_u32_e32 v14, s9, v13
	v_cmp_le_u32_e32 vcc, s9, v13
	v_cndmask_b32_e32 v13, v13, v14, vcc
	v_cndmask_b32_e32 v0, v0, v1, vcc
	v_add_u32_e32 v1, 1, v0
	v_cmp_le_u32_e32 vcc, s9, v13
	v_cndmask_b32_e32 v0, v0, v1, vcc
.LBB3_11:
	v_cmp_ne_u32_e32 vcc, v8, v0
	s_cbranch_vccz .LBB3_14
; %bb.12:
	s_add_i32 s0, s8, s9
	s_lshl_b32 s0, s0, 5
	v_mul_hi_u32 v1, v0, s16
	s_add_i32 s0, s0, s21
	s_mov_b32 s1, s10
	v_add_u32_e32 v1, v1, v0
	s_lshl_b64 s[0:1], s[0:1], 3
	v_lshrrev_b32_e32 v1, s17, v1
	s_add_u32 s4, s2, s0
	v_mul_lo_u32 v13, v1, s18
	s_addc_u32 s5, s3, s1
	v_cmp_eq_u32_e32 vcc, v13, v0
	v_cmp_gt_u32_e64 s[0:1], s19, v1
	s_or_b64 s[0:1], s[0:1], vcc
	s_and_b64 vcc, exec, s[0:1]
	s_cbranch_vccnz .LBB3_16
; %bb.13:
	s_add_i32 s11, s8, -1
	s_mov_b64 s[0:1], 0
	s_branch .LBB3_17
.LBB3_14:
                                        ; implicit-def: $sgpr0_sgpr1
                                        ; implicit-def: $vgpr14
                                        ; implicit-def: $vgpr1
                                        ; implicit-def: $vgpr13
                                        ; implicit-def: $sgpr11
                                        ; implicit-def: $vgpr0
	s_branch .LBB3_18
.LBB3_15:
                                        ; implicit-def: $vgpr0_vgpr1
	s_branch .LBB3_10
.LBB3_16:
	s_mov_b64 s[0:1], -1
	s_mov_b32 s11, s8
	v_mov_b32_e32 v0, v8
.LBB3_17:
	v_lshl_add_u32 v14, s8, 14, v4
	v_ashrrev_i32_e32 v15, 31, v14
	v_lshlrev_b64 v[14:15], 2, v[14:15]
	v_mov_b32_e32 v1, s23
	v_add_co_u32_e32 v14, vcc, s22, v14
	v_addc_co_u32_e32 v15, vcc, v1, v15, vcc
	global_load_dword v14, v[14:15], off
	s_load_dwordx2 s[4:5], s[4:5], 0x0
	v_max_f32_e32 v1, v7, v7
	s_waitcnt lgkmcnt(0)
	v_max_f32_e64 v13, s4, s4
	v_max_f32_e32 v1, v1, v13
	v_sub_f32_e32 v13, v7, v1
	v_sub_f32_e32 v15, s4, v1
	v_mul_f32_e32 v16, 0x3fb8aa3b, v13
	v_mul_f32_e32 v17, 0x3fb8aa3b, v15
	v_fma_f32 v18, v13, s6, -v16
	v_rndne_f32_e32 v19, v16
	v_fma_f32 v20, v15, s6, -v17
	v_rndne_f32_e32 v21, v17
	v_fmac_f32_e32 v18, 0x32a5705f, v13
	v_sub_f32_e32 v16, v16, v19
	v_fmac_f32_e32 v20, 0x32a5705f, v15
	v_sub_f32_e32 v17, v17, v21
	v_add_f32_e32 v16, v16, v18
	v_cvt_i32_f32_e32 v19, v19
	v_add_f32_e32 v17, v17, v20
	v_exp_f32_e32 v16, v16
	v_cvt_i32_f32_e32 v21, v21
	v_exp_f32_e32 v17, v17
	v_cmp_ngt_f32_e32 vcc, s7, v13
	v_ldexp_f32 v16, v16, v19
	v_cndmask_b32_e32 v16, 0, v16, vcc
	v_ldexp_f32 v17, v17, v21
	v_cmp_ngt_f32_e32 vcc, s7, v15
	v_cndmask_b32_e32 v17, 0, v17, vcc
	v_cmp_nlt_f32_e32 vcc, s12, v13
	v_cndmask_b32_e32 v16, v12, v16, vcc
	v_cmp_nlt_f32_e32 vcc, s12, v15
	v_cndmask_b32_e32 v17, v12, v17, vcc
	v_cmp_le_f32_e32 vcc, s13, v13
	v_cndmask_b32_e32 v16, 0, v16, vcc
	v_cmp_le_f32_e32 vcc, s13, v15
	v_cndmask_b32_e32 v15, 0, v17, vcc
	v_mul_f32_e32 v13, s5, v15
	v_fmac_f32_e32 v13, v6, v16
	s_waitcnt vmcnt(0)
	v_mul_f32_e32 v14, v14, v15
	v_fmac_f32_e32 v14, v5, v16
	s_cbranch_execnz .LBB3_19
.LBB3_18:
	s_add_i32 s11, s8, -1
	s_mov_b64 s[0:1], 0
	v_mov_b32_e32 v0, v8
	v_mov_b32_e32 v13, v6
	;; [unrolled: 1-line block ×3, first 2 shown]
	s_waitcnt vmcnt(0)
	v_mov_b32_e32 v14, v5
.LBB3_19:
	s_andn2_b64 vcc, exec, s[0:1]
	s_cbranch_vccz .LBB3_23
; %bb.20:
	v_mov_b32_e32 v8, v0
	s_mov_b32 s8, s11
	v_mov_b32_e32 v6, v13
	v_mov_b32_e32 v7, v1
	s_waitcnt vmcnt(0)
	v_mov_b32_e32 v5, v14
	s_mul_hi_i32 s11, s8, s15
	s_cmp_lg_u64 s[10:11], 0
	s_mul_i32 s4, s8, s15
	s_cbranch_scc1 .LBB3_9
	s_branch .LBB3_15
.LBB3_21:
                                        ; implicit-def: $sgpr20_sgpr21
	s_load_dwordx4 s[16:19], s[4:5], 0x44
	s_branch .LBB3_2
.LBB3_22:
                                        ; implicit-def: $vgpr2_vgpr3
	s_branch .LBB3_5
.LBB3_23:
	v_div_scale_f32 v0, s[0:1], v13, v13, v14
	v_rcp_f32_e32 v1, v0
	v_div_scale_f32 v4, vcc, v14, v13, v14
	s_waitcnt vmcnt(0)
	v_fma_f32 v5, -v0, v1, 1.0
	v_fmac_f32_e32 v1, v5, v1
	v_mul_f32_e32 v5, v4, v1
	v_fma_f32 v6, -v0, v5, v4
	v_fmac_f32_e32 v5, v6, v1
	v_fma_f32 v0, -v0, v5, v4
	v_div_fmas_f32 v0, v0, v1, v5
	v_div_fixup_f32 v0, v0, v13, v14
	global_store_dword v[2:3], v0, off
.LBB3_24:
	s_endpgm
	.section	.rodata,"a",@progbits
	.p2align	6, 0x0
	.amdhsa_kernel _ZL33flash_attn_stream_k_fixup_generalILi512ELi4ELi8EEvPfPK15HIP_vector_typeIfLj2EEiiiiS1_IjLj3EES5_S5_S5_
		.amdhsa_group_segment_fixed_size 0
		.amdhsa_private_segment_fixed_size 0
		.amdhsa_kernarg_size 336
		.amdhsa_user_sgpr_count 6
		.amdhsa_user_sgpr_private_segment_buffer 1
		.amdhsa_user_sgpr_dispatch_ptr 0
		.amdhsa_user_sgpr_queue_ptr 0
		.amdhsa_user_sgpr_kernarg_segment_ptr 1
		.amdhsa_user_sgpr_dispatch_id 0
		.amdhsa_user_sgpr_flat_scratch_init 0
		.amdhsa_user_sgpr_kernarg_preload_length 0
		.amdhsa_user_sgpr_kernarg_preload_offset 0
		.amdhsa_user_sgpr_private_segment_size 0
		.amdhsa_uses_dynamic_stack 0
		.amdhsa_system_sgpr_private_segment_wavefront_offset 0
		.amdhsa_system_sgpr_workgroup_id_x 1
		.amdhsa_system_sgpr_workgroup_id_y 1
		.amdhsa_system_sgpr_workgroup_id_z 1
		.amdhsa_system_sgpr_workgroup_info 0
		.amdhsa_system_vgpr_workitem_id 0
		.amdhsa_next_free_vgpr 22
		.amdhsa_next_free_sgpr 32
		.amdhsa_accum_offset 24
		.amdhsa_reserve_vcc 1
		.amdhsa_reserve_flat_scratch 0
		.amdhsa_float_round_mode_32 0
		.amdhsa_float_round_mode_16_64 0
		.amdhsa_float_denorm_mode_32 3
		.amdhsa_float_denorm_mode_16_64 3
		.amdhsa_dx10_clamp 1
		.amdhsa_ieee_mode 1
		.amdhsa_fp16_overflow 0
		.amdhsa_tg_split 0
		.amdhsa_exception_fp_ieee_invalid_op 0
		.amdhsa_exception_fp_denorm_src 0
		.amdhsa_exception_fp_ieee_div_zero 0
		.amdhsa_exception_fp_ieee_overflow 0
		.amdhsa_exception_fp_ieee_underflow 0
		.amdhsa_exception_fp_ieee_inexact 0
		.amdhsa_exception_int_div_zero 0
	.end_amdhsa_kernel
	.section	.text._ZL33flash_attn_stream_k_fixup_generalILi512ELi4ELi8EEvPfPK15HIP_vector_typeIfLj2EEiiiiS1_IjLj3EES5_S5_S5_,"axG",@progbits,_ZL33flash_attn_stream_k_fixup_generalILi512ELi4ELi8EEvPfPK15HIP_vector_typeIfLj2EEiiiiS1_IjLj3EES5_S5_S5_,comdat
.Lfunc_end3:
	.size	_ZL33flash_attn_stream_k_fixup_generalILi512ELi4ELi8EEvPfPK15HIP_vector_typeIfLj2EEiiiiS1_IjLj3EES5_S5_S5_, .Lfunc_end3-_ZL33flash_attn_stream_k_fixup_generalILi512ELi4ELi8EEvPfPK15HIP_vector_typeIfLj2EEiiiiS1_IjLj3EES5_S5_S5_
                                        ; -- End function
	.section	.AMDGPU.csdata,"",@progbits
; Kernel info:
; codeLenInByte = 2824
; NumSgprs: 36
; NumVgprs: 22
; NumAgprs: 0
; TotalNumVgprs: 22
; ScratchSize: 0
; MemoryBound: 0
; FloatMode: 240
; IeeeMode: 1
; LDSByteSize: 0 bytes/workgroup (compile time only)
; SGPRBlocks: 4
; VGPRBlocks: 2
; NumSGPRsForWavesPerEU: 36
; NumVGPRsForWavesPerEU: 22
; AccumOffset: 24
; Occupancy: 8
; WaveLimiterHint : 0
; COMPUTE_PGM_RSRC2:SCRATCH_EN: 0
; COMPUTE_PGM_RSRC2:USER_SGPR: 6
; COMPUTE_PGM_RSRC2:TRAP_HANDLER: 0
; COMPUTE_PGM_RSRC2:TGID_X_EN: 1
; COMPUTE_PGM_RSRC2:TGID_Y_EN: 1
; COMPUTE_PGM_RSRC2:TGID_Z_EN: 1
; COMPUTE_PGM_RSRC2:TIDIG_COMP_CNT: 0
; COMPUTE_PGM_RSRC3_GFX90A:ACCUM_OFFSET: 5
; COMPUTE_PGM_RSRC3_GFX90A:TG_SPLIT: 0
	.section	.text._ZL26flash_attn_combine_resultsILi512EEvPKfPK15HIP_vector_typeIfLj2EEPfi,"axG",@progbits,_ZL26flash_attn_combine_resultsILi512EEvPKfPK15HIP_vector_typeIfLj2EEPfi,comdat
	.globl	_ZL26flash_attn_combine_resultsILi512EEvPKfPK15HIP_vector_typeIfLj2EEPfi ; -- Begin function _ZL26flash_attn_combine_resultsILi512EEvPKfPK15HIP_vector_typeIfLj2EEPfi
	.p2align	8
	.type	_ZL26flash_attn_combine_resultsILi512EEvPKfPK15HIP_vector_typeIfLj2EEPfi,@function
_ZL26flash_attn_combine_resultsILi512EEvPKfPK15HIP_vector_typeIfLj2EEPfi: ; @_ZL26flash_attn_combine_resultsILi512EEvPKfPK15HIP_vector_typeIfLj2EEPfi
; %bb.0:
	s_load_dwordx2 s[10:11], s[4:5], 0x20
	s_load_dword s17, s[4:5], 0x18
	s_load_dwordx4 s[0:3], s[4:5], 0x0
	s_load_dwordx2 s[14:15], s[4:5], 0x10
	s_waitcnt lgkmcnt(0)
	s_mul_i32 s4, s10, s8
	s_add_i32 s4, s4, s6
	s_mul_i32 s16, s4, s11
	s_add_i32 s16, s16, s7
	s_lshl_b32 s18, s17, 1
	s_mul_i32 s4, s16, s17
	v_cmp_gt_i32_e32 vcc, s18, v0
	s_and_saveexec_b64 s[6:7], vcc
	s_cbranch_execz .LBB4_13
; %bb.1:
	v_xad_u32 v1, v0, -1, s18
	s_movk_i32 s8, 0x1ff
	s_ashr_i32 s5, s4, 31
	v_cmp_lt_u32_e32 vcc, s8, v1
	s_mov_b64 s[10:11], -1
	v_mov_b32_e32 v2, v0
	s_and_saveexec_b64 s[8:9], vcc
	s_cbranch_execz .LBB4_10
; %bb.2:
	v_lshrrev_b32_e32 v6, 9, v1
	s_lshl_b64 s[10:11], s[4:5], 3
	v_add_u32_e32 v2, -1, v6
	s_add_u32 s19, s2, s10
	v_or_b32_e32 v1, 0x200, v0
	v_lshrrev_b32_e32 v3, 1, v2
	s_addc_u32 s20, s3, s11
	v_add_u32_e32 v7, 1, v3
	v_cmp_lt_u32_e32 vcc, 13, v2
	v_mov_b32_e32 v4, 0
	v_pk_mov_b32 v[2:3], v[0:1], v[0:1] op_sel:[0,1]
	s_and_saveexec_b64 s[10:11], vcc
	s_cbranch_execz .LBB4_6
; %bb.3:
	v_and_b32_e32 v8, -8, v7
	s_mov_b32 s21, 0
	v_lshl_add_u32 v9, v0, 2, 0
	s_mov_b64 s[12:13], 0
	v_mov_b32_e32 v10, s20
	v_mov_b32_e32 v5, 0
	v_pk_mov_b32 v[2:3], v[0:1], v[0:1] op_sel:[0,1]
.LBB4_4:                                ; =>This Inner Loop Header: Depth=1
	v_mov_b32_e32 v4, v2
	v_lshlrev_b64 v[26:27], 2, v[4:5]
	v_add_u32_e32 v12, 0x400, v3
	v_mov_b32_e32 v13, v5
	v_add_co_u32_e32 v26, vcc, s19, v26
	v_lshlrev_b64 v[12:13], 2, v[12:13]
	v_addc_co_u32_e32 v27, vcc, v10, v27, vcc
	v_add_u32_e32 v14, 0x800, v3
	v_mov_b32_e32 v15, v5
	v_add_co_u32_e32 v12, vcc, s19, v12
	v_lshlrev_b64 v[14:15], 2, v[14:15]
	v_addc_co_u32_e32 v13, vcc, v10, v13, vcc
	;; [unrolled: 5-line block ×7, first 2 shown]
	v_mov_b32_e32 v4, v3
	v_add_co_u32_e32 v24, vcc, s19, v24
	v_lshlrev_b64 v[28:29], 2, v[4:5]
	v_addc_co_u32_e32 v25, vcc, v10, v25, vcc
	v_add_u32_e32 v4, 0x400, v2
	v_add_co_u32_e32 v28, vcc, s19, v28
	v_addc_co_u32_e32 v29, vcc, v10, v29, vcc
	global_load_dword v1, v[26:27], off
	v_lshlrev_b64 v[26:27], 2, v[4:5]
	v_add_u32_e32 v4, 0x800, v2
	v_add_co_u32_e32 v26, vcc, s19, v26
	v_addc_co_u32_e32 v27, vcc, v10, v27, vcc
	v_lshlrev_b64 v[30:31], 2, v[4:5]
	v_add_u32_e32 v4, 0xc00, v2
	global_load_dword v11, v[28:29], off
	global_load_dword v32, v[26:27], off
	;; [unrolled: 1-line block ×3, first 2 shown]
	v_add_co_u32_e32 v12, vcc, s19, v30
	v_addc_co_u32_e32 v13, vcc, v10, v31, vcc
	v_lshlrev_b64 v[26:27], 2, v[4:5]
	v_add_u32_e32 v4, 0x1000, v2
	v_add_co_u32_e32 v26, vcc, s19, v26
	v_addc_co_u32_e32 v27, vcc, v10, v27, vcc
	v_lshlrev_b64 v[28:29], 2, v[4:5]
	v_add_u32_e32 v4, 0x1400, v2
	global_load_dword v30, v[12:13], off
	global_load_dword v31, v[14:15], off
	;; [unrolled: 1-line block ×4, first 2 shown]
	v_add_co_u32_e32 v12, vcc, s19, v28
	v_addc_co_u32_e32 v13, vcc, v10, v29, vcc
	v_lshlrev_b64 v[14:15], 2, v[4:5]
	v_add_u32_e32 v4, 0x1800, v2
	v_add_co_u32_e32 v14, vcc, s19, v14
	v_addc_co_u32_e32 v15, vcc, v10, v15, vcc
	v_lshlrev_b64 v[16:17], 2, v[4:5]
	v_add_u32_e32 v4, 0x1c00, v2
	global_load_dword v26, v[12:13], off
	global_load_dword v27, v[18:19], off
	;; [unrolled: 1-line block ×4, first 2 shown]
	v_add_co_u32_e32 v12, vcc, s19, v16
	v_addc_co_u32_e32 v13, vcc, v10, v17, vcc
	v_lshlrev_b64 v[14:15], 2, v[4:5]
	v_add_co_u32_e32 v14, vcc, s19, v14
	v_addc_co_u32_e32 v15, vcc, v10, v15, vcc
	global_load_dword v16, v[12:13], off
	global_load_dword v17, v[22:23], off
	global_load_dword v18, v[14:15], off
	global_load_dword v19, v[24:25], off
	v_add_u32_e32 v8, -8, v8
	s_add_i32 s21, s21, 16
	v_cmp_eq_u32_e32 vcc, 0, v8
	v_add_u32_e32 v3, 0x2000, v3
	v_mov_b32_e32 v4, s21
	s_or_b64 s[12:13], vcc, s[12:13]
	v_add_u32_e32 v2, 0x2000, v2
	s_waitcnt vmcnt(14)
	ds_write2st64_b32 v9, v1, v11 offset1:8
	s_waitcnt vmcnt(12)
	ds_write2st64_b32 v9, v32, v33 offset0:16 offset1:24
	s_waitcnt vmcnt(10)
	ds_write2st64_b32 v9, v30, v31 offset0:32 offset1:40
	;; [unrolled: 2-line block ×7, first 2 shown]
	v_add_u32_e32 v9, 0x8000, v9
	s_andn2_b64 exec, exec, s[12:13]
	s_cbranch_execnz .LBB4_4
; %bb.5:
	s_or_b64 exec, exec, s[12:13]
.LBB4_6:
	s_or_b64 exec, exec, s[10:11]
	v_and_b32_e32 v1, 7, v7
	v_cmp_ne_u32_e32 vcc, 0, v1
	s_and_saveexec_b64 s[10:11], vcc
	s_cbranch_execz .LBB4_9
; %bb.7:
	v_lshlrev_b32_e32 v5, 2, v0
	v_lshl_or_b32 v4, v4, 11, v5
	v_add_u32_e32 v7, 0, v4
	s_mov_b64 s[12:13], 0
	v_mov_b32_e32 v8, s20
	v_mov_b32_e32 v5, 0
.LBB4_8:                                ; =>This Inner Loop Header: Depth=1
	v_mov_b32_e32 v4, v2
	v_lshlrev_b64 v[10:11], 2, v[4:5]
	v_mov_b32_e32 v4, v3
	v_add_co_u32_e32 v10, vcc, s19, v10
	v_addc_co_u32_e32 v11, vcc, v8, v11, vcc
	v_lshlrev_b64 v[12:13], 2, v[4:5]
	v_add_co_u32_e32 v12, vcc, s19, v12
	v_addc_co_u32_e32 v13, vcc, v8, v13, vcc
	global_load_dword v4, v[10:11], off
	global_load_dword v9, v[12:13], off
	v_add_u32_e32 v1, -1, v1
	v_cmp_eq_u32_e32 vcc, 0, v1
	v_add_u32_e32 v2, 0x400, v2
	v_add_u32_e32 v3, 0x400, v3
	s_or_b64 s[12:13], vcc, s[12:13]
	s_waitcnt vmcnt(0)
	ds_write2st64_b32 v7, v4, v9 offset1:8
	v_add_u32_e32 v7, 0x1000, v7
	s_andn2_b64 exec, exec, s[12:13]
	s_cbranch_execnz .LBB4_8
.LBB4_9:
	s_or_b64 exec, exec, s[10:11]
	v_add_u32_e32 v1, 1, v6
	v_and_b32_e32 v3, 0xfffffe, v1
	v_cmp_ne_u32_e32 vcc, v1, v3
	v_lshl_or_b32 v2, v3, 9, v0
	s_orn2_b64 s[10:11], vcc, exec
.LBB4_10:
	s_or_b64 exec, exec, s[8:9]
	s_and_b64 exec, exec, s[10:11]
	s_cbranch_execz .LBB4_13
; %bb.11:
	s_lshl_b64 s[8:9], s[4:5], 3
	v_mov_b32_e32 v3, 0
	s_add_u32 s2, s2, s8
	v_lshlrev_b64 v[4:5], 2, v[2:3]
	s_addc_u32 s3, s3, s9
	v_mov_b32_e32 v1, s3
	v_add_co_u32_e32 v4, vcc, s2, v4
	v_addc_co_u32_e32 v5, vcc, v1, v5, vcc
	v_lshl_add_u32 v1, v2, 2, 0
	s_mov_b64 s[2:3], 0
.LBB4_12:                               ; =>This Inner Loop Header: Depth=1
	global_load_dword v3, v[4:5], off
	v_add_co_u32_e32 v4, vcc, 0x800, v4
	v_add_u32_e32 v2, 0x200, v2
	v_addc_co_u32_e32 v5, vcc, 0, v5, vcc
	v_cmp_le_i32_e32 vcc, s18, v2
	s_or_b64 s[2:3], vcc, s[2:3]
	s_waitcnt vmcnt(0)
	ds_write_b32 v1, v3
	v_add_u32_e32 v1, 0x800, v1
	s_andn2_b64 exec, exec, s[2:3]
	s_cbranch_execnz .LBB4_12
.LBB4_13:
	s_or_b64 exec, exec, s[6:7]
	v_mov_b32_e32 v1, 0
	s_waitcnt lgkmcnt(0)
	s_barrier
	ds_read_b32 v1, v1
	s_cmp_lt_i32 s17, 2
	s_cbranch_scc1 .LBB4_21
; %bb.14:
	s_add_i32 s2, s17, -1
	s_add_i32 s3, s17, -2
	s_cmp_lt_u32 s3, 7
	s_cbranch_scc1 .LBB4_18
; %bb.15:
	s_mov_b32 s6, 0
	s_add_i32 s3, 0, 8
	s_and_b32 s5, s2, -8
.LBB4_16:                               ; =>This Inner Loop Header: Depth=1
	v_mov_b32_e32 v8, s3
	ds_read2_b32 v[2:3], v8 offset1:2
	ds_read2_b32 v[4:5], v8 offset0:4 offset1:6
	ds_read2_b32 v[6:7], v8 offset0:8 offset1:10
	;; [unrolled: 1-line block ×3, first 2 shown]
	s_mov_b32 s7, s6
	s_waitcnt lgkmcnt(3)
	v_max3_f32 v1, v1, v2, v3
	s_waitcnt lgkmcnt(2)
	v_max3_f32 v1, v1, v4, v5
	s_add_i32 s3, s3, 64
	s_add_i32 s6, s6, 8
	s_waitcnt lgkmcnt(1)
	v_max3_f32 v1, v1, v6, v7
	s_cmp_eq_u32 s5, s6
	s_waitcnt lgkmcnt(0)
	v_max3_f32 v1, v1, v8, v9
	s_cbranch_scc0 .LBB4_16
; %bb.17:
	s_add_i32 s3, s7, 9
	s_and_b32 s2, s2, 7
	s_cmp_eq_u32 s2, 0
	s_cbranch_scc0 .LBB4_19
	s_branch .LBB4_21
.LBB4_18:
	s_mov_b32 s3, 1
	s_and_b32 s2, s2, 7
	s_cmp_eq_u32 s2, 0
	s_cbranch_scc1 .LBB4_21
.LBB4_19:
	s_lshl_b32 s3, s3, 3
	s_add_i32 s3, s3, 0
.LBB4_20:                               ; =>This Inner Loop Header: Depth=1
	v_mov_b32_e32 v2, s3
	ds_read_b32 v2, v2
	s_waitcnt lgkmcnt(1)
	v_max_f32_e32 v1, v1, v1
	s_add_i32 s3, s3, 8
	s_add_i32 s2, s2, -1
	s_cmp_lg_u32 s2, 0
	s_waitcnt lgkmcnt(0)
	v_max_f32_e32 v2, v2, v2
	v_max_f32_e32 v1, v1, v2
	s_cbranch_scc1 .LBB4_20
.LBB4_21:
	s_cmp_lt_i32 s17, 1
	s_cbranch_scc1 .LBB4_26
; %bb.22:
	s_lshl_b32 s2, s4, 9
	s_ashr_i32 s3, s2, 31
	s_lshl_b64 s[2:3], s[2:3], 2
	s_add_u32 s18, s0, s2
	s_addc_u32 s19, s1, s3
	s_cmp_lt_u32 s17, 8
	v_mov_b32_e32 v6, 0
	s_cbranch_scc1 .LBB4_27
; %bb.23:
	s_and_b32 s20, s17, 0x7ffffff8
	v_or_b32_e32 v2, 0xe00, v0
	s_mov_b32 s21, 0
	v_mov_b32_e32 v5, 0
	s_mov_b32 s22, 0x3fb8aa3b
	s_mov_b32 s23, 0xc2ce8ed0
	;; [unrolled: 1-line block ×3, first 2 shown]
	v_mov_b32_e32 v8, 0x7f800000
	v_mov_b32_e32 v9, s19
	s_mov_b32 s25, 0
	v_mov_b32_e32 v7, 0
	v_mov_b32_e32 v6, 0
.LBB4_24:                               ; =>This Inner Loop Header: Depth=1
	v_add_u32_e32 v4, 0xfffff200, v2
	v_lshlrev_b64 v[26:27], 2, v[4:5]
	v_mov_b32_e32 v3, v5
	v_add_co_u32_e32 v26, vcc, s18, v26
	v_lshlrev_b64 v[28:29], 2, v[2:3]
	v_addc_co_u32_e32 v27, vcc, v9, v27, vcc
	v_add_u32_e32 v4, 0xfffff400, v2
	v_add_co_u32_e32 v28, vcc, s18, v28
	v_mov_b32_e32 v22, s21
	v_lshlrev_b64 v[30:31], 2, v[4:5]
	v_addc_co_u32_e32 v29, vcc, v9, v29, vcc
	ds_read2_b64 v[10:13], v22 offset1:1
	ds_read2_b64 v[14:17], v22 offset0:2 offset1:3
	ds_read2_b64 v[18:21], v22 offset0:4 offset1:5
	ds_read2_b64 v[22:25], v22 offset0:6 offset1:7
	v_add_u32_e32 v4, 0xfffff600, v2
	global_load_dword v3, v[26:27], off
	v_add_co_u32_e32 v26, vcc, s18, v30
	v_addc_co_u32_e32 v27, vcc, v9, v31, vcc
	v_lshlrev_b64 v[30:31], 2, v[4:5]
	v_add_u32_e32 v4, 0xfffff800, v2
	v_add_co_u32_e32 v30, vcc, s18, v30
	v_addc_co_u32_e32 v31, vcc, v9, v31, vcc
	v_lshlrev_b64 v[32:33], 2, v[4:5]
	v_add_u32_e32 v4, 0xfffffa00, v2
	global_load_dword v34, v[26:27], off
	global_load_dword v35, v[30:31], off
	v_add_co_u32_e32 v26, vcc, s18, v32
	v_addc_co_u32_e32 v27, vcc, v9, v33, vcc
	v_lshlrev_b64 v[30:31], 2, v[4:5]
	v_add_u32_e32 v4, 0xfffffc00, v2
	v_add_co_u32_e32 v30, vcc, s18, v30
	v_addc_co_u32_e32 v31, vcc, v9, v31, vcc
	v_lshlrev_b64 v[32:33], 2, v[4:5]
	global_load_dword v36, v[26:27], off
	v_add_u32_e32 v4, 0xfffffe00, v2
	global_load_dword v28, v[28:29], off
	v_add_co_u32_e32 v26, vcc, s18, v32
	v_addc_co_u32_e32 v27, vcc, v9, v33, vcc
	global_load_dword v42, v[30:31], off
	s_waitcnt lgkmcnt(3)
	v_sub_f32_e32 v12, v12, v1
	global_load_dword v26, v[26:27], off
	v_lshlrev_b64 v[30:31], 2, v[4:5]
	v_add_co_u32_e32 v30, vcc, s18, v30
	v_addc_co_u32_e32 v31, vcc, v9, v31, vcc
	global_load_dword v30, v[30:31], off
	s_waitcnt lgkmcnt(2)
	v_sub_f32_e32 v14, v14, v1
	v_sub_f32_e32 v10, v10, v1
	v_mul_f32_e32 v38, 0x3fb8aa3b, v12
	v_mul_f32_e32 v39, 0x3fb8aa3b, v14
	s_waitcnt lgkmcnt(1)
	v_sub_f32_e32 v18, v18, v1
	s_waitcnt lgkmcnt(0)
	v_sub_f32_e32 v22, v22, v1
	v_mul_f32_e32 v37, 0x3fb8aa3b, v10
	v_fma_f32 v45, v12, s22, -v38
	v_rndne_f32_e32 v46, v38
	v_fma_f32 v47, v14, s22, -v39
	v_rndne_f32_e32 v48, v39
	v_sub_f32_e32 v16, v16, v1
	v_sub_f32_e32 v20, v20, v1
	v_mul_f32_e32 v41, 0x3fb8aa3b, v18
	v_mul_f32_e32 v32, 0x3fb8aa3b, v22
	v_fma_f32 v33, v10, s22, -v37
	v_rndne_f32_e32 v44, v37
	v_fmac_f32_e32 v45, 0x32a5705f, v12
	v_sub_f32_e32 v38, v38, v46
	v_fmac_f32_e32 v47, 0x32a5705f, v14
	v_sub_f32_e32 v39, v39, v48
	v_mul_f32_e32 v40, 0x3fb8aa3b, v16
	v_mul_f32_e32 v43, 0x3fb8aa3b, v20
	v_fma_f32 v27, v18, s22, -v41
	v_rndne_f32_e32 v31, v41
	v_fmac_f32_e32 v33, 0x32a5705f, v10
	v_sub_f32_e32 v37, v37, v44
	v_add_f32_e32 v38, v38, v45
	v_fma_f32 v45, v22, s22, -v32
	v_add_f32_e32 v39, v39, v47
	v_rndne_f32_e32 v47, v32
	v_fma_f32 v49, v16, s22, -v40
	v_rndne_f32_e32 v50, v40
	v_fma_f32 v29, v20, s22, -v43
	v_add_f32_e32 v33, v37, v33
	v_rndne_f32_e32 v37, v43
	v_fmac_f32_e32 v27, 0x32a5705f, v18
	v_sub_f32_e32 v41, v41, v31
	v_fmac_f32_e32 v45, 0x32a5705f, v22
	v_sub_f32_e32 v32, v32, v47
	;; [unrolled: 2-line block ×3, first 2 shown]
	v_add_f32_e32 v27, v41, v27
	v_cvt_i32_f32_e32 v44, v44
	v_fmac_f32_e32 v29, 0x32a5705f, v20
	v_sub_f32_e32 v43, v43, v37
	v_add_f32_e32 v32, v32, v45
	v_exp_f32_e32 v33, v33
	v_add_f32_e32 v40, v40, v49
	v_cvt_i32_f32_e32 v46, v46
	v_cvt_i32_f32_e32 v31, v31
	v_cvt_i32_f32_e32 v47, v47
	v_add_f32_e32 v29, v43, v29
	v_exp_f32_e32 v38, v38
	v_exp_f32_e32 v27, v27
	;; [unrolled: 1-line block ×3, first 2 shown]
	v_sub_f32_e32 v24, v24, v1
	v_cvt_i32_f32_e32 v48, v48
	v_cvt_i32_f32_e32 v50, v50
	;; [unrolled: 1-line block ×3, first 2 shown]
	v_exp_f32_e32 v39, v39
	v_exp_f32_e32 v40, v40
	;; [unrolled: 1-line block ×3, first 2 shown]
	v_mul_f32_e32 v4, 0x3fb8aa3b, v24
	v_fma_f32 v49, v24, s22, -v4
	v_rndne_f32_e32 v41, v4
	v_ldexp_f32 v33, v33, v44
	v_cmp_ngt_f32_e64 s[12:13], s23, v10
	v_fmac_f32_e32 v49, 0x32a5705f, v24
	v_sub_f32_e32 v4, v4, v41
	v_ldexp_f32 v38, v38, v46
	v_cmp_ngt_f32_e32 vcc, s23, v12
	v_ldexp_f32 v27, v27, v31
	v_ldexp_f32 v31, v32, v47
	v_cndmask_b32_e64 v32, 0, v33, s[12:13]
	v_cmp_nlt_f32_e64 s[12:13], s24, v10
	v_add_f32_e32 v4, v4, v49
	v_ldexp_f32 v39, v39, v48
	v_cmp_ngt_f32_e64 s[0:1], s23, v14
	v_ldexp_f32 v40, v40, v50
	v_cmp_ngt_f32_e64 s[2:3], s23, v16
	v_cmp_ngt_f32_e64 s[4:5], s23, v18
	v_ldexp_f32 v29, v29, v37
	v_cmp_ngt_f32_e64 s[6:7], s23, v20
	v_cmp_ngt_f32_e64 s[8:9], s23, v22
	v_cndmask_b32_e32 v33, 0, v38, vcc
	v_cmp_nlt_f32_e32 vcc, s24, v12
	v_cndmask_b32_e64 v10, v8, v32, s[12:13]
	v_cvt_i32_f32_e32 v41, v41
	v_exp_f32_e32 v4, v4
	v_cndmask_b32_e64 v12, 0, v39, s[0:1]
	v_cmp_nlt_f32_e64 s[0:1], s24, v14
	v_cndmask_b32_e64 v14, 0, v40, s[2:3]
	v_cmp_nlt_f32_e64 s[2:3], s24, v16
	;; [unrolled: 2-line block ×5, first 2 shown]
	v_cndmask_b32_e32 v22, v8, v33, vcc
	v_fmac_f32_e32 v7, v10, v11
	s_waitcnt vmcnt(7)
	v_fmac_f32_e32 v6, v3, v10
	v_cndmask_b32_e64 v12, v8, v12, s[0:1]
	v_fmac_f32_e32 v7, v22, v13
	s_waitcnt vmcnt(6)
	v_fmac_f32_e32 v6, v34, v22
	v_cndmask_b32_e64 v14, v8, v14, s[2:3]
	;; [unrolled: 4-line block ×3, first 2 shown]
	v_fmac_f32_e32 v7, v14, v17
	s_waitcnt vmcnt(4)
	v_fmac_f32_e32 v6, v36, v14
	v_ldexp_f32 v4, v4, v41
	v_cmp_ngt_f32_e64 s[10:11], s23, v24
	v_cndmask_b32_e64 v18, v8, v18, s[6:7]
	v_fmac_f32_e32 v7, v16, v19
	s_waitcnt vmcnt(2)
	v_fmac_f32_e32 v6, v42, v16
	v_cndmask_b32_e64 v4, 0, v4, s[10:11]
	v_cmp_nlt_f32_e64 s[10:11], s24, v24
	v_cndmask_b32_e64 v20, v8, v20, s[8:9]
	v_fmac_f32_e32 v7, v18, v21
	s_waitcnt vmcnt(1)
	v_fmac_f32_e32 v6, v26, v18
	s_add_i32 s25, s25, 8
	s_add_i32 s21, s21, 64
	v_cndmask_b32_e64 v4, v8, v4, s[10:11]
	v_fmac_f32_e32 v7, v20, v23
	s_waitcnt vmcnt(0)
	v_fmac_f32_e32 v6, v30, v20
	s_cmp_eq_u32 s20, s25
	v_add_u32_e32 v2, 0x1000, v2
	v_fmac_f32_e32 v7, v4, v25
	v_fmac_f32_e32 v6, v28, v4
	s_cbranch_scc0 .LBB4_24
; %bb.25:
	s_and_b32 s0, s17, 7
	s_cmp_eq_u32 s0, 0
	s_cbranch_scc0 .LBB4_28
	s_branch .LBB4_30
.LBB4_26:
	s_waitcnt lgkmcnt(0)
	v_mov_b32_e32 v1, 0x7fc00000
	s_branch .LBB4_31
.LBB4_27:
	s_mov_b32 s20, 0
	v_mov_b32_e32 v7, 0
	s_and_b32 s0, s17, 7
	s_cmp_eq_u32 s0, 0
	s_cbranch_scc1 .LBB4_30
.LBB4_28:
	s_lshl_b32 s1, s20, 3
	v_lshl_or_b32 v2, s20, 9, v0
	s_add_i32 s1, s1, 0
	s_mov_b32 s2, 0x3fb8aa3b
	s_mov_b32 s3, 0xc2ce8ed0
	;; [unrolled: 1-line block ×3, first 2 shown]
	v_mov_b32_e32 v4, 0x7f800000
	v_mov_b32_e32 v3, 0
	;; [unrolled: 1-line block ×3, first 2 shown]
.LBB4_29:                               ; =>This Inner Loop Header: Depth=1
	v_lshlrev_b64 v[8:9], 2, v[2:3]
	v_add_co_u32_e32 v8, vcc, s18, v8
	v_addc_co_u32_e32 v9, vcc, v5, v9, vcc
	global_load_dword v10, v[8:9], off
	v_mov_b32_e32 v8, s1
	ds_read_b64 v[8:9], v8
	s_add_i32 s1, s1, 8
	s_add_i32 s0, s0, -1
	v_add_u32_e32 v2, 0x200, v2
	s_cmp_lg_u32 s0, 0
	s_waitcnt lgkmcnt(0)
	v_sub_f32_e32 v8, v8, v1
	v_mul_f32_e32 v11, 0x3fb8aa3b, v8
	v_fma_f32 v12, v8, s2, -v11
	v_rndne_f32_e32 v13, v11
	v_fmac_f32_e32 v12, 0x32a5705f, v8
	v_sub_f32_e32 v11, v11, v13
	v_add_f32_e32 v11, v11, v12
	v_cvt_i32_f32_e32 v13, v13
	v_exp_f32_e32 v11, v11
	v_cmp_ngt_f32_e32 vcc, s3, v8
	v_ldexp_f32 v11, v11, v13
	v_cndmask_b32_e32 v11, 0, v11, vcc
	v_cmp_nlt_f32_e32 vcc, s4, v8
	v_cndmask_b32_e32 v8, v4, v11, vcc
	v_fmac_f32_e32 v7, v8, v9
	s_waitcnt vmcnt(0)
	v_fmac_f32_e32 v6, v10, v8
	s_cbranch_scc1 .LBB4_29
.LBB4_30:
	s_waitcnt lgkmcnt(0)
	v_div_scale_f32 v1, s[0:1], v7, v7, v6
	v_rcp_f32_e32 v2, v1
	v_div_scale_f32 v3, vcc, v6, v7, v6
	v_fma_f32 v4, -v1, v2, 1.0
	v_fmac_f32_e32 v2, v4, v2
	v_mul_f32_e32 v4, v3, v2
	v_fma_f32 v5, -v1, v4, v3
	v_fmac_f32_e32 v4, v5, v2
	v_fma_f32 v1, -v1, v4, v3
	v_div_fmas_f32 v1, v1, v2, v4
	v_div_fixup_f32 v1, v1, v7, v6
.LBB4_31:
	s_lshl_b32 s0, s16, 9
	s_ashr_i32 s1, s0, 31
	s_lshl_b64 s[0:1], s[0:1], 2
	s_add_u32 s0, s14, s0
	s_addc_u32 s1, s15, s1
	v_lshlrev_b32_e32 v0, 2, v0
	global_store_dword v0, v1, s[0:1]
	s_endpgm
	.section	.rodata,"a",@progbits
	.p2align	6, 0x0
	.amdhsa_kernel _ZL26flash_attn_combine_resultsILi512EEvPKfPK15HIP_vector_typeIfLj2EEPfi
		.amdhsa_group_segment_fixed_size 0
		.amdhsa_private_segment_fixed_size 0
		.amdhsa_kernarg_size 288
		.amdhsa_user_sgpr_count 6
		.amdhsa_user_sgpr_private_segment_buffer 1
		.amdhsa_user_sgpr_dispatch_ptr 0
		.amdhsa_user_sgpr_queue_ptr 0
		.amdhsa_user_sgpr_kernarg_segment_ptr 1
		.amdhsa_user_sgpr_dispatch_id 0
		.amdhsa_user_sgpr_flat_scratch_init 0
		.amdhsa_user_sgpr_kernarg_preload_length 0
		.amdhsa_user_sgpr_kernarg_preload_offset 0
		.amdhsa_user_sgpr_private_segment_size 0
		.amdhsa_uses_dynamic_stack 0
		.amdhsa_system_sgpr_private_segment_wavefront_offset 0
		.amdhsa_system_sgpr_workgroup_id_x 1
		.amdhsa_system_sgpr_workgroup_id_y 1
		.amdhsa_system_sgpr_workgroup_id_z 1
		.amdhsa_system_sgpr_workgroup_info 0
		.amdhsa_system_vgpr_workitem_id 0
		.amdhsa_next_free_vgpr 51
		.amdhsa_next_free_sgpr 26
		.amdhsa_accum_offset 52
		.amdhsa_reserve_vcc 1
		.amdhsa_reserve_flat_scratch 0
		.amdhsa_float_round_mode_32 0
		.amdhsa_float_round_mode_16_64 0
		.amdhsa_float_denorm_mode_32 3
		.amdhsa_float_denorm_mode_16_64 3
		.amdhsa_dx10_clamp 1
		.amdhsa_ieee_mode 1
		.amdhsa_fp16_overflow 0
		.amdhsa_tg_split 0
		.amdhsa_exception_fp_ieee_invalid_op 0
		.amdhsa_exception_fp_denorm_src 0
		.amdhsa_exception_fp_ieee_div_zero 0
		.amdhsa_exception_fp_ieee_overflow 0
		.amdhsa_exception_fp_ieee_underflow 0
		.amdhsa_exception_fp_ieee_inexact 0
		.amdhsa_exception_int_div_zero 0
	.end_amdhsa_kernel
	.section	.text._ZL26flash_attn_combine_resultsILi512EEvPKfPK15HIP_vector_typeIfLj2EEPfi,"axG",@progbits,_ZL26flash_attn_combine_resultsILi512EEvPKfPK15HIP_vector_typeIfLj2EEPfi,comdat
.Lfunc_end4:
	.size	_ZL26flash_attn_combine_resultsILi512EEvPKfPK15HIP_vector_typeIfLj2EEPfi, .Lfunc_end4-_ZL26flash_attn_combine_resultsILi512EEvPKfPK15HIP_vector_typeIfLj2EEPfi
                                        ; -- End function
	.section	.AMDGPU.csdata,"",@progbits
; Kernel info:
; codeLenInByte = 3048
; NumSgprs: 30
; NumVgprs: 51
; NumAgprs: 0
; TotalNumVgprs: 51
; ScratchSize: 0
; MemoryBound: 0
; FloatMode: 240
; IeeeMode: 1
; LDSByteSize: 0 bytes/workgroup (compile time only)
; SGPRBlocks: 3
; VGPRBlocks: 6
; NumSGPRsForWavesPerEU: 30
; NumVGPRsForWavesPerEU: 51
; AccumOffset: 52
; Occupancy: 8
; WaveLimiterHint : 0
; COMPUTE_PGM_RSRC2:SCRATCH_EN: 0
; COMPUTE_PGM_RSRC2:USER_SGPR: 6
; COMPUTE_PGM_RSRC2:TRAP_HANDLER: 0
; COMPUTE_PGM_RSRC2:TGID_X_EN: 1
; COMPUTE_PGM_RSRC2:TGID_Y_EN: 1
; COMPUTE_PGM_RSRC2:TGID_Z_EN: 1
; COMPUTE_PGM_RSRC2:TIDIG_COMP_CNT: 0
; COMPUTE_PGM_RSRC3_GFX90A:ACCUM_OFFSET: 12
; COMPUTE_PGM_RSRC3_GFX90A:TG_SPLIT: 0
	.section	.text._ZL15flash_attn_tileILi512ELi512ELi2ELi8ELb0EEvPKcS1_S1_S1_S1_PKiPfP15HIP_vector_typeIfLj2EEffffjfiS5_IjLj3EEiiiiiiiiiiiliiliiiiil,"axG",@progbits,_ZL15flash_attn_tileILi512ELi512ELi2ELi8ELb0EEvPKcS1_S1_S1_S1_PKiPfP15HIP_vector_typeIfLj2EEffffjfiS5_IjLj3EEiiiiiiiiiiiliiliiiiil,comdat
	.globl	_ZL15flash_attn_tileILi512ELi512ELi2ELi8ELb0EEvPKcS1_S1_S1_S1_PKiPfP15HIP_vector_typeIfLj2EEffffjfiS5_IjLj3EEiiiiiiiiiiiliiliiiiil ; -- Begin function _ZL15flash_attn_tileILi512ELi512ELi2ELi8ELb0EEvPKcS1_S1_S1_S1_PKiPfP15HIP_vector_typeIfLj2EEffffjfiS5_IjLj3EEiiiiiiiiiiiliiliiiiil
	.p2align	8
	.type	_ZL15flash_attn_tileILi512ELi512ELi2ELi8ELb0EEvPKcS1_S1_S1_S1_PKiPfP15HIP_vector_typeIfLj2EEffffjfiS5_IjLj3EEiiiiiiiiiiiliiliiiiil,@function
_ZL15flash_attn_tileILi512ELi512ELi2ELi8ELb0EEvPKcS1_S1_S1_S1_PKiPfP15HIP_vector_typeIfLj2EEffffjfiS5_IjLj3EEiiiiiiiiiiiliiliiiiil: ; @_ZL15flash_attn_tileILi512ELi512ELi2ELi8ELb0EEvPKcS1_S1_S1_S1_PKiPfP15HIP_vector_typeIfLj2EEffffjfiS5_IjLj3EEiiiiiiiiiiiliiliiiiil
; %bb.0:
	s_load_dwordx4 s[24:27], s[4:5], 0x5c
	s_load_dwordx2 s[28:29], s[4:5], 0x80
	s_load_dwordx2 s[34:35], s[4:5], 0xb8
	s_mov_b64 s[30:31], 0
	s_waitcnt lgkmcnt(0)
	s_ashr_i32 s0, s27, 31
	s_lshr_b32 s0, s0, 29
	s_add_i32 s0, s27, s0
	s_ashr_i32 s0, s0, 3
	v_cvt_f32_u32_e32 v1, s0
	s_sub_i32 s1, 0, s0
	v_rcp_iflag_f32_e32 v1, v1
	v_mul_f32_e32 v1, 0x4f7ffffe, v1
	v_cvt_u32_f32_e32 v1, v1
	v_readfirstlane_b32 s2, v1
	s_mul_i32 s1, s1, s2
	s_mul_hi_u32 s1, s2, s1
	s_add_i32 s2, s2, s1
	s_mul_hi_u32 s1, s8, s2
	s_mul_i32 s2, s1, s0
	s_sub_i32 s2, s8, s2
	s_add_i32 s3, s1, 1
	s_sub_i32 s9, s2, s0
	s_cmp_ge_u32 s2, s0
	s_cselect_b32 s1, s3, s1
	s_cselect_b32 s2, s9, s2
	s_add_i32 s3, s1, 1
	s_cmp_ge_u32 s2, s0
	s_cselect_b32 s33, s3, s1
	s_abs_i32 s0, s29
	v_cvt_f32_u32_e32 v1, s0
	s_lshl_b32 s1, s8, 3
	s_mul_i32 s8, s33, s27
	s_xor_b32 s2, s27, s29
	v_rcp_iflag_f32_e32 v1, v1
	s_sub_i32 s9, 0, s0
	s_sub_i32 s29, s1, s8
	s_abs_i32 s3, s27
	v_mul_f32_e32 v1, 0x4f7ffffe, v1
	v_cvt_u32_f32_e32 v1, v1
	s_ashr_i32 s2, s2, 31
	v_readfirstlane_b32 s1, v1
	s_mul_i32 s9, s9, s1
	s_mul_hi_u32 s8, s1, s9
	s_add_i32 s1, s1, s8
	s_mul_hi_u32 s1, s3, s1
	s_mul_i32 s8, s1, s0
	s_sub_i32 s3, s3, s8
	s_add_i32 s9, s1, 1
	s_sub_i32 s8, s3, s0
	s_cmp_ge_u32 s3, s0
	s_cselect_b32 s1, s9, s1
	s_cselect_b32 s3, s8, s3
	s_add_i32 s8, s1, 1
	s_cmp_ge_u32 s3, s0
	s_cselect_b32 s0, s8, s1
	s_xor_b32 s0, s0, s2
	s_sub_i32 s37, s0, s2
	s_abs_i32 s36, s37
	v_cvt_f32_u32_e32 v1, s36
	s_load_dwordx16 s[8:23], s[4:5], 0x0
	v_rcp_iflag_f32_e32 v1, v1
	s_waitcnt lgkmcnt(0)
	s_cmp_eq_u64 s[14:15], 0
	v_mul_f32_e32 v1, 0x4f7ffffe, v1
	v_cvt_u32_f32_e32 v1, v1
	v_readfirstlane_b32 s38, v1
	s_cbranch_scc1 .LBB5_2
; %bb.1:
	s_abs_i32 s2, s34
	v_cvt_f32_u32_e32 v1, s2
	s_sub_i32 s31, 0, s2
	s_abs_i32 s30, s33
	s_ashr_i32 s3, s33, 31
	v_rcp_iflag_f32_e32 v1, v1
	s_load_dwordx2 s[0:1], s[4:5], 0xc8
	v_mul_f32_e32 v1, 0x4f7ffffe, v1
	v_cvt_u32_f32_e32 v1, v1
	v_readfirstlane_b32 s34, v1
	s_mul_i32 s31, s31, s34
	s_mul_hi_u32 s31, s34, s31
	s_add_i32 s34, s34, s31
	s_mul_hi_u32 s31, s30, s34
	s_mul_i32 s31, s31, s2
	s_sub_i32 s30, s30, s31
	s_sub_i32 s31, s30, s2
	s_cmp_ge_u32 s30, s2
	s_cselect_b32 s30, s31, s30
	s_sub_i32 s31, s30, s2
	s_cmp_ge_u32 s30, s2
	s_cselect_b32 s2, s31, s30
	s_xor_b32 s2, s2, s3
	s_sub_i32 s2, s2, s3
	s_ashr_i32 s3, s2, 31
	s_waitcnt lgkmcnt(0)
	s_mul_i32 s1, s2, s1
	s_mul_hi_u32 s30, s2, s0
	s_add_i32 s1, s30, s1
	s_mul_i32 s3, s3, s0
	s_add_i32 s1, s1, s3
	s_mul_i32 s2, s2, s0
	s_add_u32 s30, s14, s2
	s_addc_u32 s31, s15, s1
.LBB5_2:
	s_load_dwordx4 s[0:3], s[4:5], 0x70
	v_bfe_u32 v1, v0, 10, 10
	v_lshrrev_b32_e32 v2, 2, v1
	v_lshl_add_u32 v9, s6, 1, v2
	v_mul_hi_u32 v2, s24, v9
	s_waitcnt lgkmcnt(0)
	s_mul_i32 s2, s33, s2
	s_ashr_i32 s14, s2, 31
	s_mul_i32 s3, s29, s1
	s_add_u32 s2, s8, s2
	s_addc_u32 s8, s9, s14
	s_ashr_i32 s9, s3, 31
	v_add_u32_e32 v2, v9, v2
	s_add_u32 s14, s2, s3
	v_lshrrev_b32_e32 v2, s25, v2
	s_addc_u32 s8, s8, s9
	v_mul_lo_u32 v2, v2, s26
	s_ashr_i32 s15, s0, 31
	v_mov_b32_e32 v4, s0
	v_sub_u32_e32 v2, v9, v2
	v_alignbit_b32 v4, s15, v4, 2
	v_mad_u64_u32 v[4:5], s[2:3], v4, v2, 0
	v_mov_b32_e32 v6, v5
	s_lshr_b32 s0, s15, 2
	v_mad_u64_u32 v[6:7], s[2:3], s0, v2, v[6:7]
	v_mov_b32_e32 v5, v6
	v_lshlrev_b64 v[4:5], 2, v[4:5]
	v_and_b32_e32 v8, 0x3ff, v0
	v_mov_b32_e32 v0, s8
	v_add_co_u32_e32 v4, vcc, s14, v4
	v_addc_co_u32_e32 v0, vcc, v0, v5, vcc
	v_lshlrev_b32_e32 v5, 4, v8
	v_add_co_u32_e32 v20, vcc, v4, v5
	v_lshlrev_b32_e32 v3, 1, v1
	s_ashr_i32 s9, s1, 31
	v_addc_co_u32_e32 v28, vcc, 0, v0, vcc
	v_mov_b32_e32 v0, s1
	v_and_b32_e32 v21, 6, v3
	v_alignbit_b32 v26, s9, v0, 2
	v_mad_u64_u32 v[4:5], s[0:1], v26, v21, 0
	v_mov_b32_e32 v0, v5
	s_lshr_b32 s2, s9, 2
	v_mad_u64_u32 v[6:7], s[0:1], s2, v21, v[0:1]
	v_mov_b32_e32 v5, v6
	v_lshlrev_b64 v[4:5], 2, v[4:5]
	v_add_co_u32_e32 v18, vcc, v20, v4
	v_addc_co_u32_e32 v19, vcc, v28, v5, vcc
	global_load_dwordx4 v[4:7], v[18:19], off
	global_load_dwordx4 v[10:13], v[18:19], off offset:512
	global_load_dwordx4 v[14:17], v[18:19], off offset:1024
	;; [unrolled: 1-line block ×3, first 2 shown]
	v_or_b32_e32 v3, 1, v3
	v_and_b32_e32 v27, 7, v3
	v_mad_u64_u32 v[18:19], s[0:1], v26, v27, 0
	v_mov_b32_e32 v0, v19
	v_mad_u64_u32 v[26:27], s[0:1], s2, v27, v[0:1]
	v_mov_b32_e32 v19, v26
	v_lshlrev_b64 v[18:19], 2, v[18:19]
	v_add_co_u32_e32 v18, vcc, v20, v18
	v_addc_co_u32_e32 v19, vcc, v28, v19, vcc
	global_load_dwordx4 v[26:29], v[18:19], off
	global_load_dwordx4 v[30:33], v[18:19], off offset:512
	global_load_dwordx4 v[34:37], v[18:19], off offset:1024
	;; [unrolled: 1-line block ×3, first 2 shown]
	s_load_dword s0, s[4:5], 0x40
	s_mov_b32 s1, 0
	v_lshlrev_b32_e32 v18, 3, v8
	v_lshl_or_b32 v20, v1, 11, v18
	v_lshlrev_b32_e32 v0, 1, v8
	v_lshlrev_b32_e32 v3, 8, v3
	v_add_lshl_u32 v0, v3, v0, 2
	s_cmp_eq_u64 s[18:19], 0
	s_waitcnt vmcnt(7) lgkmcnt(0)
	v_pk_mul_f32 v[4:5], v[4:5], s[0:1] op_sel_hi:[1,0]
	v_pk_mul_f32 v[6:7], v[6:7], s[0:1] op_sel_hi:[1,0]
	s_waitcnt vmcnt(6)
	v_pk_mul_f32 v[10:11], v[10:11], s[0:1] op_sel_hi:[1,0]
	v_pk_mul_f32 v[12:13], v[12:13], s[0:1] op_sel_hi:[1,0]
	s_waitcnt vmcnt(4)
	v_pk_mul_f32 v[18:19], v[22:23], s[0:1] op_sel_hi:[1,0]
	v_cvt_f16_f32_e32 v22, v5
	v_cvt_f16_f32_e32 v4, v4
	;; [unrolled: 1-line block ×8, first 2 shown]
	v_pack_b32_f16 v5, v6, v5
	v_pack_b32_f16 v4, v4, v22
	;; [unrolled: 1-line block ×4, first 2 shown]
	v_pk_mul_f32 v[14:15], v[14:15], s[0:1] op_sel_hi:[1,0]
	v_pk_mul_f32 v[16:17], v[16:17], s[0:1] op_sel_hi:[1,0]
	ds_write2_b64 v20, v[4:5], v[6:7] offset1:32
	v_pk_mul_f32 v[4:5], v[24:25], s[0:1] op_sel_hi:[1,0]
	v_cvt_f16_f32_e32 v13, v15
	v_cvt_f16_f32_e32 v14, v14
	;; [unrolled: 1-line block ×8, first 2 shown]
	v_pack_b32_f16 v5, v16, v15
	v_pack_b32_f16 v4, v14, v13
	;; [unrolled: 1-line block ×4, first 2 shown]
	ds_write2_b64 v20, v[4:5], v[6:7] offset0:64 offset1:96
	s_waitcnt vmcnt(3)
	v_pk_mul_f32 v[4:5], v[26:27], s[0:1] op_sel_hi:[1,0]
	v_cvt_f16_f32_e32 v10, v5
	v_cvt_f16_f32_e32 v11, v4
	v_pk_mul_f32 v[4:5], v[28:29], s[0:1] op_sel_hi:[1,0]
	v_cvt_f16_f32_e32 v12, v5
	v_cvt_f16_f32_e32 v13, v4
	s_waitcnt vmcnt(2)
	v_pk_mul_f32 v[4:5], v[30:31], s[0:1] op_sel_hi:[1,0]
	v_pk_mul_f32 v[6:7], v[32:33], s[0:1] op_sel_hi:[1,0]
	v_cvt_f16_f32_e32 v3, v5
	v_cvt_f16_f32_e32 v7, v7
	;; [unrolled: 1-line block ×4, first 2 shown]
	v_pack_b32_f16 v5, v13, v12
	v_pack_b32_f16 v4, v11, v10
	;; [unrolled: 1-line block ×4, first 2 shown]
	ds_write2_b64 v0, v[4:5], v[6:7] offset1:32
	s_waitcnt vmcnt(1)
	v_pk_mul_f32 v[4:5], v[34:35], s[0:1] op_sel_hi:[1,0]
	v_cvt_f16_f32_e32 v3, v5
	v_cvt_f16_f32_e32 v10, v4
	v_pk_mul_f32 v[4:5], v[36:37], s[0:1] op_sel_hi:[1,0]
	v_cvt_f16_f32_e32 v11, v5
	v_cvt_f16_f32_e32 v12, v4
	s_waitcnt vmcnt(0)
	v_pk_mul_f32 v[4:5], v[38:39], s[0:1] op_sel_hi:[1,0]
	v_pk_mul_f32 v[6:7], v[40:41], s[0:1] op_sel_hi:[1,0]
	v_cvt_f16_f32_e32 v13, v5
	v_cvt_f16_f32_e32 v7, v7
	;; [unrolled: 1-line block ×4, first 2 shown]
	v_pack_b32_f16 v5, v12, v11
	v_pack_b32_f16 v4, v10, v3
	v_pack_b32_f16 v7, v6, v7
	v_pack_b32_f16 v6, v14, v13
	ds_write2_b64 v0, v[4:5], v[6:7] offset0:64 offset1:96
	s_waitcnt lgkmcnt(0)
	s_barrier
	s_cbranch_scc1 .LBB5_4
; %bb.3:
	s_load_dword s0, s[4:5], 0xd0
	s_waitcnt lgkmcnt(0)
	s_mul_i32 s0, s0, s33
	s_add_i32 s0, s0, s6
	s_lshl_b64 s[0:1], s[0:1], 2
	s_add_u32 s0, s18, s0
	s_addc_u32 s1, s19, s1
	s_load_dword s28, s[0:1], 0x0
.LBB5_4:
	s_lshl_b32 s24, s7, 6
	v_lshlrev_b32_e32 v23, 2, v8
	s_waitcnt lgkmcnt(0)
	s_cmp_lt_i32 s24, s28
	v_mbcnt_lo_u32_b32 v0, -1, 0
	s_cbranch_scc1 .LBB5_6
; %bb.5:
	v_mbcnt_hi_u32_b32 v13, -1, v0
	v_and_b32_e32 v3, 0x60, v13
	s_mov_b32 s0, 0xfeffffff
	s_mov_b32 s6, 0
	v_add_u32_e32 v25, 32, v3
	v_xor_b32_e32 v56, 16, v13
	v_xor_b32_e32 v33, 8, v13
	;; [unrolled: 1-line block ×5, first 2 shown]
	s_mov_b32 s1, s0
	s_mov_b64 s[2:3], 0
	s_branch .LBB5_7
.LBB5_6:
	s_mov_b64 s[2:3], -1
                                        ; implicit-def: $sgpr6
                                        ; implicit-def: $sgpr0_sgpr1
                                        ; implicit-def: $vgpr13
                                        ; implicit-def: $vgpr25
                                        ; implicit-def: $vgpr56
                                        ; implicit-def: $vgpr33
                                        ; implicit-def: $vgpr31
                                        ; implicit-def: $vgpr29
                                        ; implicit-def: $vgpr27
.LBB5_7:
	s_andn2_b64 vcc, exec, s[2:3]
	v_mov_b32_e32 v11, s6
	v_mov_b32_e32 v82, s6
	v_pk_mov_b32 v[34:35], s[0:1], s[0:1] op_sel:[0,1]
	v_mov_b32_e32 v80, s6
	v_mov_b32_e32 v10, s6
	;; [unrolled: 1-line block ×16, first 2 shown]
	s_cbranch_vccnz .LBB5_10
; %bb.8:
	s_sub_i32 s0, 0, s36
	s_mul_i32 s0, s0, s38
	s_mul_hi_u32 s0, s38, s0
	s_add_i32 s38, s38, s0
	s_load_dwordx2 s[8:9], s[4:5], 0x8c
	s_load_dwordx4 s[0:3], s[4:5], 0x98
	s_abs_i32 s6, s29
	s_ashr_i32 s19, s29, 31
	s_ashr_i32 s37, s37, 31
	s_waitcnt lgkmcnt(0)
	s_ashr_i32 s34, s8, 2
	s_ashr_i32 s25, s2, 2
	;; [unrolled: 1-line block ×4, first 2 shown]
	s_mul_i32 s1, s33, s1
	s_mul_hi_u32 s35, s33, s0
	s_add_i32 s1, s35, s1
	s_mul_i32 s35, s8, s0
	s_add_i32 s1, s1, s35
	s_mul_i32 s0, s33, s0
	s_mul_hi_u32 s18, s6, s38
	s_add_u32 s0, s10, s0
	s_addc_u32 s1, s11, s1
	s_mul_i32 s11, s18, s36
	s_sub_i32 s6, s6, s11
	s_xor_b32 s10, s19, s37
	s_add_i32 s11, s18, 1
	s_sub_i32 s19, s6, s36
	s_cmp_ge_u32 s6, s36
	s_cselect_b32 s11, s11, s18
	s_cselect_b32 s6, s19, s6
	s_add_i32 s18, s11, 1
	s_cmp_ge_u32 s6, s36
	s_cselect_b32 s6, s18, s11
	s_load_dwordx2 s[14:15], s[4:5], 0xa8
	s_xor_b32 s6, s6, s10
	s_sub_i32 s6, s6, s10
	s_mul_i32 s9, s6, s9
	s_ashr_i32 s10, s9, 31
	s_add_u32 s35, s0, s9
	s_addc_u32 s36, s1, s10
	s_waitcnt lgkmcnt(0)
	s_mul_i32 s0, s33, s15
	s_mul_hi_u32 s1, s33, s14
	s_add_i32 s0, s1, s0
	s_mul_i32 s8, s8, s14
	s_add_i32 s0, s0, s8
	s_mul_i32 s1, s33, s14
	s_add_u32 s1, s12, s1
	s_mul_i32 s6, s6, s3
	s_addc_u32 s0, s13, s0
	s_ashr_i32 s3, s6, 31
	s_add_u32 s6, s1, s6
	v_lshrrev_b32_e32 v3, 3, v8
	v_and_b32_e32 v4, 28, v23
	s_addc_u32 s3, s0, s3
	v_lshl_add_u32 v3, v1, 2, v3
	v_lshlrev_b32_e32 v5, 2, v4
	s_movk_i32 s0, 0x90
	v_mad_u32_u24 v5, v3, s0, v5
	v_mad_u64_u32 v[12:13], s[0:1], v2, s2, v[8:9]
	v_mov_b32_e32 v2, 0x6400
	v_lshl_add_u32 v61, v1, 8, v2
	v_mul_lo_u32 v2, s25, v1
	v_mul_lo_u32 v6, s34, v3
	v_ashrrev_i32_e32 v3, 31, v2
	v_add_u32_e32 v57, 0x4000, v5
	v_add_u32_e32 v58, 0x5200, v5
	v_lshlrev_b32_e32 v5, 2, v23
	v_lshlrev_b64 v[2:3], 2, v[2:3]
	v_lshlrev_b32_e32 v60, 11, v1
	v_lshl_add_u32 v13, v1, 10, v5
	v_mov_b32_e32 v1, s3
	v_add_co_u32_e32 v2, vcc, s6, v2
	v_lshl_add_u32 v10, s34, 5, v6
	v_add_u32_e32 v62, 0x4000, v13
	v_addc_co_u32_e32 v1, vcc, v1, v3, vcc
	v_add_u32_e32 v63, 0x4200, v13
	v_mov_b32_e32 v3, 0x4000
	v_mbcnt_hi_u32_b32 v13, -1, v0
	v_mov_b32_e32 v74, 0
	v_ashrrev_i32_e32 v7, 31, v6
	v_ashrrev_i32_e32 v11, 31, v10
	v_lshl_or_b32 v64, v8, 3, v3
	s_add_u32 s18, s4, 0xd0
	v_add_co_u32_e32 v65, vcc, v2, v5
	v_mov_b32_e32 v18, 0xfeffffff
	v_and_b32_e32 v0, 0x60, v13
	v_mul_u32_u24_e32 v59, 0x90, v8
	s_addc_u32 s19, s5, 0
	v_addc_co_u32_e32 v66, vcc, 0, v1, vcc
	v_lshlrev_b64 v[14:15], 2, v[6:7]
	v_lshlrev_b32_e32 v67, 2, v4
	v_lshlrev_b64 v[16:17], 2, v[10:11]
	v_add_u32_e32 v25, 32, v0
	v_xor_b32_e32 v56, 16, v13
	v_xor_b32_e32 v33, 8, v13
	v_xor_b32_e32 v31, 4, v13
	v_xor_b32_e32 v29, 2, v13
	v_xor_b32_e32 v27, 1, v13
	v_mov_b32_e32 v68, s31
	s_mov_b32 s6, 0x40051340
	s_mov_b32 s31, 0x3fb8aa3b
	;; [unrolled: 1-line block ×4, first 2 shown]
	v_mov_b32_e32 v69, 0x7f800000
	v_add_u32_e32 v70, v61, v23
	v_add_u32_e32 v71, 0x800, v64
	;; [unrolled: 1-line block ×4, first 2 shown]
	v_mov_b32_e32 v80, 0
	v_mov_b32_e32 v20, 0
	v_mov_b32_e32 v75, 0
	v_mov_b32_e32 v22, 0
	v_mov_b32_e32 v76, 0
	v_mov_b32_e32 v24, 0
	v_mov_b32_e32 v78, 0
	v_mov_b32_e32 v26, 0
	v_mov_b32_e32 v77, 0
	v_mov_b32_e32 v30, 0
	v_mov_b32_e32 v79, 0
	v_mov_b32_e32 v32, 0
	v_mov_b32_e32 v81, 0
	v_mov_b32_e32 v28, 0
	v_mov_b32_e32 v82, 0
	v_mov_b32_e32 v19, v18
	v_mov_b32_e32 v10, 0
	v_mov_b32_e32 v11, v74
.LBB5_9:                                ; =>This Inner Loop Header: Depth=1
	v_cmp_lt_i32_e32 vcc, v56, v25
	v_cndmask_b32_e32 v1, v13, v56, vcc
	v_cmp_lt_i32_e32 vcc, v33, v25
	v_add_u32_e32 v0, s24, v12
	v_cndmask_b32_e32 v2, v13, v33, vcc
	v_cmp_lt_i32_e32 vcc, v31, v25
	s_mul_hi_i32 s1, s24, s34
	s_mul_i32 s0, s24, s34
	v_cndmask_b32_e32 v3, v13, v31, vcc
	v_cmp_lt_i32_e32 vcc, v29, v25
	v_lshlrev_b32_e32 v87, 2, v1
	v_ashrrev_i32_e32 v1, 31, v0
	v_cndmask_b32_e32 v4, v13, v29, vcc
	v_cmp_lt_i32_e32 vcc, v27, v25
	s_lshl_b64 s[0:1], s[0:1], 2
	v_lshlrev_b64 v[0:1], 1, v[0:1]
	v_cndmask_b32_e32 v5, v13, v27, vcc
	s_mul_hi_i32 s9, s24, s25
	s_mul_i32 s8, s24, s25
	s_add_u32 s2, s35, s0
	v_add_co_u32_e32 v0, vcc, s30, v0
	s_addc_u32 s3, s36, s1
	v_addc_co_u32_e32 v1, vcc, v68, v1, vcc
	s_lshl_b64 s[0:1], s[8:9], 2
	v_lshlrev_b32_e32 v85, 2, v3
	v_lshlrev_b32_e32 v84, 2, v4
	;; [unrolled: 1-line block ×3, first 2 shown]
	v_mov_b32_e32 v3, s3
	v_add_co_u32_e32 v4, vcc, s2, v16
	v_mov_b32_e32 v5, s1
	v_add_co_u32_e64 v52, s[0:1], s0, v65
	v_lshlrev_b32_e32 v86, 2, v2
	v_mov_b32_e32 v2, s3
	v_add_co_u32_e64 v6, s[2:3], s2, v14
	v_addc_co_u32_e32 v3, vcc, v3, v17, vcc
	v_addc_co_u32_e64 v53, s[0:1], v66, v5, s[0:1]
	v_addc_co_u32_e64 v7, s[2:3], v2, v15, s[2:3]
	v_add_co_u32_e32 v2, vcc, v4, v67
	v_add_co_u32_e64 v4, s[0:1], v6, v67
	v_addc_co_u32_e64 v5, s[0:1], 0, v7, s[0:1]
	v_addc_co_u32_e32 v3, vcc, 0, v3, vcc
	global_load_dwordx4 v[88:91], v[4:5], off
	global_load_dwordx4 v[92:95], v[2:3], off
	v_mov_b32_e32 v34, 0
	v_mov_b32_e32 v36, 0
	;; [unrolled: 1-line block ×4, first 2 shown]
	s_or_b32 s8, s24, 8
	s_or_b32 s9, s24, 16
	;; [unrolled: 1-line block ×7, first 2 shown]
	s_mul_hi_i32 s15, s8, s25
	s_mul_i32 s14, s8, s25
	s_mul_hi_i32 s41, s9, s25
	s_mul_i32 s40, s9, s25
	;; [unrolled: 2-line block ×7, first 2 shown]
	s_lshl_b64 s[2:3], s[14:15], 2
	s_lshl_b64 s[14:15], s[40:41], 2
	;; [unrolled: 1-line block ×6, first 2 shown]
	v_mov_b32_e32 v6, s3
	v_add_co_u32_e32 v50, vcc, s2, v65
	v_mov_b32_e32 v7, s15
	v_add_co_u32_e64 v48, s[0:1], s14, v65
	s_waitcnt vmcnt(1)
	ds_write_b128 v57, v[88:91]
	s_waitcnt vmcnt(0)
	ds_write_b128 v58, v[92:95]
	s_waitcnt lgkmcnt(0)
	s_barrier
	ds_read_b128 v[88:91], v60
	ds_read_b128 v[92:95], v59 offset:16384
	ds_read_b128 v[96:99], v59 offset:20992
	ds_read_b128 v[100:103], v60 offset:1024
	s_waitcnt lgkmcnt(2)
	;;#ASMSTART
	v_dot2_f32_f16 v34, v92, v88, v34
	;;#ASMEND
	;;#ASMSTART
	v_dot2_f32_f16 v34, v93, v89, v34
	;;#ASMEND
	;;#ASMSTART
	v_dot2_f32_f16 v34, v94, v90, v34
	;;#ASMEND
	;;#ASMSTART
	v_dot2_f32_f16 v34, v95, v91, v34
	;;#ASMEND
	s_waitcnt lgkmcnt(0)
	;;#ASMSTART
	v_dot2_f32_f16 v36, v92, v100, v36
	;;#ASMEND
	;;#ASMSTART
	v_dot2_f32_f16 v36, v93, v101, v36
	;;#ASMEND
	;;#ASMSTART
	v_dot2_f32_f16 v36, v94, v102, v36
	;;#ASMEND
	;;#ASMSTART
	v_dot2_f32_f16 v36, v95, v103, v36
	;;#ASMEND
	;;#ASMSTART
	v_dot2_f32_f16 v35, v96, v88, v35
	;;#ASMEND
	;;#ASMSTART
	v_dot2_f32_f16 v35, v97, v89, v35
	;;#ASMEND
	;;#ASMSTART
	v_dot2_f32_f16 v35, v98, v90, v35
	;;#ASMEND
	;;#ASMSTART
	v_dot2_f32_f16 v35, v99, v91, v35
	;;#ASMEND
	;;#ASMSTART
	v_dot2_f32_f16 v37, v96, v100, v37
	;;#ASMEND
	;;#ASMSTART
	v_dot2_f32_f16 v37, v97, v101, v37
	;;#ASMEND
	;;#ASMSTART
	v_dot2_f32_f16 v37, v98, v102, v37
	;;#ASMEND
	;;#ASMSTART
	v_dot2_f32_f16 v37, v99, v103, v37
	;;#ASMEND
	ds_read_b128 v[88:91], v60 offset:16
	ds_read_b128 v[92:95], v59 offset:16400
	ds_read_b128 v[96:99], v59 offset:21008
	ds_read_b128 v[100:103], v60 offset:1040
	s_waitcnt lgkmcnt(2)
	;;#ASMSTART
	v_dot2_f32_f16 v34, v92, v88, v34
	;;#ASMEND
	;;#ASMSTART
	v_dot2_f32_f16 v34, v93, v89, v34
	;;#ASMEND
	;;#ASMSTART
	v_dot2_f32_f16 v34, v94, v90, v34
	;;#ASMEND
	;;#ASMSTART
	v_dot2_f32_f16 v34, v95, v91, v34
	;;#ASMEND
	s_waitcnt lgkmcnt(0)
	;;#ASMSTART
	v_dot2_f32_f16 v36, v92, v100, v36
	;;#ASMEND
	;;#ASMSTART
	v_dot2_f32_f16 v36, v93, v101, v36
	;;#ASMEND
	;;#ASMSTART
	v_dot2_f32_f16 v36, v94, v102, v36
	;;#ASMEND
	;;#ASMSTART
	v_dot2_f32_f16 v36, v95, v103, v36
	;;#ASMEND
	;;#ASMSTART
	v_dot2_f32_f16 v35, v96, v88, v35
	;;#ASMEND
	;;#ASMSTART
	v_dot2_f32_f16 v35, v97, v89, v35
	;;#ASMEND
	;;#ASMSTART
	v_dot2_f32_f16 v35, v98, v90, v35
	;;#ASMEND
	;;#ASMSTART
	v_dot2_f32_f16 v35, v99, v91, v35
	;;#ASMEND
	;;#ASMSTART
	v_dot2_f32_f16 v37, v96, v100, v37
	;;#ASMEND
	;;#ASMSTART
	v_dot2_f32_f16 v37, v97, v101, v37
	;;#ASMEND
	;;#ASMSTART
	v_dot2_f32_f16 v37, v98, v102, v37
	;;#ASMEND
	;;#ASMSTART
	v_dot2_f32_f16 v37, v99, v103, v37
	;;#ASMEND
	ds_read_b128 v[88:91], v60 offset:32
	;; [unrolled: 54-line block ×7, first 2 shown]
	ds_read_b128 v[92:95], v59 offset:16496
	ds_read_b128 v[96:99], v59 offset:21104
	;; [unrolled: 1-line block ×3, first 2 shown]
	s_waitcnt lgkmcnt(2)
	;;#ASMSTART
	v_dot2_f32_f16 v34, v92, v88, v34
	;;#ASMEND
	;;#ASMSTART
	v_dot2_f32_f16 v34, v93, v89, v34
	;;#ASMEND
	;; [unrolled: 3-line block ×4, first 2 shown]
	s_waitcnt lgkmcnt(0)
	;;#ASMSTART
	v_dot2_f32_f16 v36, v92, v100, v36
	;;#ASMEND
	;;#ASMSTART
	v_dot2_f32_f16 v36, v93, v101, v36
	;;#ASMEND
	;; [unrolled: 3-line block ×12, first 2 shown]
	s_barrier
	global_load_dwordx4 v[88:91], v[4:5], off offset:128
	global_load_dwordx4 v[92:95], v[2:3], off offset:128
	s_waitcnt vmcnt(1)
	ds_write_b128 v57, v[88:91]
	s_waitcnt vmcnt(0)
	ds_write_b128 v58, v[92:95]
	s_waitcnt lgkmcnt(0)
	s_barrier
	ds_read_b128 v[88:91], v60 offset:128
	ds_read_b128 v[92:95], v59 offset:16384
	ds_read_b128 v[96:99], v59 offset:20992
	ds_read_b128 v[100:103], v60 offset:1152
	s_waitcnt lgkmcnt(2)
	;;#ASMSTART
	v_dot2_f32_f16 v34, v92, v88, v34
	;;#ASMEND
	;;#ASMSTART
	v_dot2_f32_f16 v34, v93, v89, v34
	;;#ASMEND
	;;#ASMSTART
	v_dot2_f32_f16 v34, v94, v90, v34
	;;#ASMEND
	;;#ASMSTART
	v_dot2_f32_f16 v34, v95, v91, v34
	;;#ASMEND
	s_waitcnt lgkmcnt(0)
	;;#ASMSTART
	v_dot2_f32_f16 v36, v92, v100, v36
	;;#ASMEND
	;;#ASMSTART
	v_dot2_f32_f16 v36, v93, v101, v36
	;;#ASMEND
	;;#ASMSTART
	v_dot2_f32_f16 v36, v94, v102, v36
	;;#ASMEND
	;;#ASMSTART
	v_dot2_f32_f16 v36, v95, v103, v36
	;;#ASMEND
	;;#ASMSTART
	v_dot2_f32_f16 v35, v96, v88, v35
	;;#ASMEND
	;;#ASMSTART
	v_dot2_f32_f16 v35, v97, v89, v35
	;;#ASMEND
	;;#ASMSTART
	v_dot2_f32_f16 v35, v98, v90, v35
	;;#ASMEND
	;;#ASMSTART
	v_dot2_f32_f16 v35, v99, v91, v35
	;;#ASMEND
	;;#ASMSTART
	v_dot2_f32_f16 v37, v96, v100, v37
	;;#ASMEND
	;;#ASMSTART
	v_dot2_f32_f16 v37, v97, v101, v37
	;;#ASMEND
	;;#ASMSTART
	v_dot2_f32_f16 v37, v98, v102, v37
	;;#ASMEND
	;;#ASMSTART
	v_dot2_f32_f16 v37, v99, v103, v37
	;;#ASMEND
	ds_read_b128 v[88:91], v60 offset:144
	ds_read_b128 v[92:95], v59 offset:16400
	ds_read_b128 v[96:99], v59 offset:21008
	ds_read_b128 v[100:103], v60 offset:1168
	s_waitcnt lgkmcnt(2)
	;;#ASMSTART
	v_dot2_f32_f16 v34, v92, v88, v34
	;;#ASMEND
	;;#ASMSTART
	v_dot2_f32_f16 v34, v93, v89, v34
	;;#ASMEND
	;;#ASMSTART
	v_dot2_f32_f16 v34, v94, v90, v34
	;;#ASMEND
	;;#ASMSTART
	v_dot2_f32_f16 v34, v95, v91, v34
	;;#ASMEND
	s_waitcnt lgkmcnt(0)
	;;#ASMSTART
	v_dot2_f32_f16 v36, v92, v100, v36
	;;#ASMEND
	;;#ASMSTART
	v_dot2_f32_f16 v36, v93, v101, v36
	;;#ASMEND
	;;#ASMSTART
	v_dot2_f32_f16 v36, v94, v102, v36
	;;#ASMEND
	;;#ASMSTART
	v_dot2_f32_f16 v36, v95, v103, v36
	;;#ASMEND
	;;#ASMSTART
	v_dot2_f32_f16 v35, v96, v88, v35
	;;#ASMEND
	;;#ASMSTART
	v_dot2_f32_f16 v35, v97, v89, v35
	;;#ASMEND
	;;#ASMSTART
	v_dot2_f32_f16 v35, v98, v90, v35
	;;#ASMEND
	;;#ASMSTART
	v_dot2_f32_f16 v35, v99, v91, v35
	;;#ASMEND
	;;#ASMSTART
	v_dot2_f32_f16 v37, v96, v100, v37
	;;#ASMEND
	;;#ASMSTART
	v_dot2_f32_f16 v37, v97, v101, v37
	;;#ASMEND
	;;#ASMSTART
	v_dot2_f32_f16 v37, v98, v102, v37
	;;#ASMEND
	;;#ASMSTART
	v_dot2_f32_f16 v37, v99, v103, v37
	;;#ASMEND
	;; [unrolled: 54-line block ×8, first 2 shown]
	s_barrier
	global_load_dwordx4 v[88:91], v[4:5], off offset:256
	global_load_dwordx4 v[92:95], v[2:3], off offset:256
	s_waitcnt vmcnt(1)
	ds_write_b128 v57, v[88:91]
	s_waitcnt vmcnt(0)
	ds_write_b128 v58, v[92:95]
	s_waitcnt lgkmcnt(0)
	s_barrier
	ds_read_b128 v[88:91], v60 offset:256
	ds_read_b128 v[92:95], v59 offset:16384
	ds_read_b128 v[96:99], v59 offset:20992
	ds_read_b128 v[100:103], v60 offset:1280
	s_waitcnt lgkmcnt(2)
	;;#ASMSTART
	v_dot2_f32_f16 v34, v92, v88, v34
	;;#ASMEND
	;;#ASMSTART
	v_dot2_f32_f16 v34, v93, v89, v34
	;;#ASMEND
	;;#ASMSTART
	v_dot2_f32_f16 v34, v94, v90, v34
	;;#ASMEND
	;;#ASMSTART
	v_dot2_f32_f16 v34, v95, v91, v34
	;;#ASMEND
	s_waitcnt lgkmcnt(0)
	;;#ASMSTART
	v_dot2_f32_f16 v36, v92, v100, v36
	;;#ASMEND
	;;#ASMSTART
	v_dot2_f32_f16 v36, v93, v101, v36
	;;#ASMEND
	;;#ASMSTART
	v_dot2_f32_f16 v36, v94, v102, v36
	;;#ASMEND
	;;#ASMSTART
	v_dot2_f32_f16 v36, v95, v103, v36
	;;#ASMEND
	;;#ASMSTART
	v_dot2_f32_f16 v35, v96, v88, v35
	;;#ASMEND
	;;#ASMSTART
	v_dot2_f32_f16 v35, v97, v89, v35
	;;#ASMEND
	;;#ASMSTART
	v_dot2_f32_f16 v35, v98, v90, v35
	;;#ASMEND
	;;#ASMSTART
	v_dot2_f32_f16 v35, v99, v91, v35
	;;#ASMEND
	;;#ASMSTART
	v_dot2_f32_f16 v37, v96, v100, v37
	;;#ASMEND
	;;#ASMSTART
	v_dot2_f32_f16 v37, v97, v101, v37
	;;#ASMEND
	;;#ASMSTART
	v_dot2_f32_f16 v37, v98, v102, v37
	;;#ASMEND
	;;#ASMSTART
	v_dot2_f32_f16 v37, v99, v103, v37
	;;#ASMEND
	ds_read_b128 v[88:91], v60 offset:272
	ds_read_b128 v[92:95], v59 offset:16400
	ds_read_b128 v[96:99], v59 offset:21008
	ds_read_b128 v[100:103], v60 offset:1296
	s_waitcnt lgkmcnt(2)
	;;#ASMSTART
	v_dot2_f32_f16 v34, v92, v88, v34
	;;#ASMEND
	;;#ASMSTART
	v_dot2_f32_f16 v34, v93, v89, v34
	;;#ASMEND
	;;#ASMSTART
	v_dot2_f32_f16 v34, v94, v90, v34
	;;#ASMEND
	;;#ASMSTART
	v_dot2_f32_f16 v34, v95, v91, v34
	;;#ASMEND
	s_waitcnt lgkmcnt(0)
	;;#ASMSTART
	v_dot2_f32_f16 v36, v92, v100, v36
	;;#ASMEND
	;;#ASMSTART
	v_dot2_f32_f16 v36, v93, v101, v36
	;;#ASMEND
	;;#ASMSTART
	v_dot2_f32_f16 v36, v94, v102, v36
	;;#ASMEND
	;;#ASMSTART
	v_dot2_f32_f16 v36, v95, v103, v36
	;;#ASMEND
	;;#ASMSTART
	v_dot2_f32_f16 v35, v96, v88, v35
	;;#ASMEND
	;;#ASMSTART
	v_dot2_f32_f16 v35, v97, v89, v35
	;;#ASMEND
	;;#ASMSTART
	v_dot2_f32_f16 v35, v98, v90, v35
	;;#ASMEND
	;;#ASMSTART
	v_dot2_f32_f16 v35, v99, v91, v35
	;;#ASMEND
	;;#ASMSTART
	v_dot2_f32_f16 v37, v96, v100, v37
	;;#ASMEND
	;;#ASMSTART
	v_dot2_f32_f16 v37, v97, v101, v37
	;;#ASMEND
	;;#ASMSTART
	v_dot2_f32_f16 v37, v98, v102, v37
	;;#ASMEND
	;;#ASMSTART
	v_dot2_f32_f16 v37, v99, v103, v37
	;;#ASMEND
	;; [unrolled: 54-line block ×8, first 2 shown]
	s_barrier
	global_load_dwordx4 v[88:91], v[4:5], off offset:384
	global_load_dwordx4 v[92:95], v[2:3], off offset:384
	s_waitcnt vmcnt(1)
	ds_write_b128 v57, v[88:91]
	s_waitcnt vmcnt(0)
	ds_write_b128 v58, v[92:95]
	s_waitcnt lgkmcnt(0)
	s_barrier
	ds_read_b128 v[88:91], v60 offset:384
	ds_read_b128 v[92:95], v59 offset:16384
	ds_read_b128 v[96:99], v59 offset:20992
	ds_read_b128 v[100:103], v60 offset:1408
	s_waitcnt lgkmcnt(2)
	;;#ASMSTART
	v_dot2_f32_f16 v34, v92, v88, v34
	;;#ASMEND
	;;#ASMSTART
	v_dot2_f32_f16 v34, v93, v89, v34
	;;#ASMEND
	;;#ASMSTART
	v_dot2_f32_f16 v34, v94, v90, v34
	;;#ASMEND
	;;#ASMSTART
	v_dot2_f32_f16 v34, v95, v91, v34
	;;#ASMEND
	s_waitcnt lgkmcnt(0)
	;;#ASMSTART
	v_dot2_f32_f16 v36, v92, v100, v36
	;;#ASMEND
	;;#ASMSTART
	v_dot2_f32_f16 v36, v93, v101, v36
	;;#ASMEND
	;;#ASMSTART
	v_dot2_f32_f16 v36, v94, v102, v36
	;;#ASMEND
	;;#ASMSTART
	v_dot2_f32_f16 v36, v95, v103, v36
	;;#ASMEND
	;;#ASMSTART
	v_dot2_f32_f16 v35, v96, v88, v35
	;;#ASMEND
	;;#ASMSTART
	v_dot2_f32_f16 v35, v97, v89, v35
	;;#ASMEND
	;;#ASMSTART
	v_dot2_f32_f16 v35, v98, v90, v35
	;;#ASMEND
	;;#ASMSTART
	v_dot2_f32_f16 v35, v99, v91, v35
	;;#ASMEND
	;;#ASMSTART
	v_dot2_f32_f16 v37, v96, v100, v37
	;;#ASMEND
	;;#ASMSTART
	v_dot2_f32_f16 v37, v97, v101, v37
	;;#ASMEND
	;;#ASMSTART
	v_dot2_f32_f16 v37, v98, v102, v37
	;;#ASMEND
	;;#ASMSTART
	v_dot2_f32_f16 v37, v99, v103, v37
	;;#ASMEND
	ds_read_b128 v[88:91], v60 offset:400
	ds_read_b128 v[92:95], v59 offset:16400
	ds_read_b128 v[96:99], v59 offset:21008
	ds_read_b128 v[100:103], v60 offset:1424
	s_waitcnt lgkmcnt(2)
	;;#ASMSTART
	v_dot2_f32_f16 v34, v92, v88, v34
	;;#ASMEND
	;;#ASMSTART
	v_dot2_f32_f16 v34, v93, v89, v34
	;;#ASMEND
	;;#ASMSTART
	v_dot2_f32_f16 v34, v94, v90, v34
	;;#ASMEND
	;;#ASMSTART
	v_dot2_f32_f16 v34, v95, v91, v34
	;;#ASMEND
	s_waitcnt lgkmcnt(0)
	;;#ASMSTART
	v_dot2_f32_f16 v36, v92, v100, v36
	;;#ASMEND
	;;#ASMSTART
	v_dot2_f32_f16 v36, v93, v101, v36
	;;#ASMEND
	;;#ASMSTART
	v_dot2_f32_f16 v36, v94, v102, v36
	;;#ASMEND
	;;#ASMSTART
	v_dot2_f32_f16 v36, v95, v103, v36
	;;#ASMEND
	;;#ASMSTART
	v_dot2_f32_f16 v35, v96, v88, v35
	;;#ASMEND
	;;#ASMSTART
	v_dot2_f32_f16 v35, v97, v89, v35
	;;#ASMEND
	;;#ASMSTART
	v_dot2_f32_f16 v35, v98, v90, v35
	;;#ASMEND
	;;#ASMSTART
	v_dot2_f32_f16 v35, v99, v91, v35
	;;#ASMEND
	;;#ASMSTART
	v_dot2_f32_f16 v37, v96, v100, v37
	;;#ASMEND
	;;#ASMSTART
	v_dot2_f32_f16 v37, v97, v101, v37
	;;#ASMEND
	;;#ASMSTART
	v_dot2_f32_f16 v37, v98, v102, v37
	;;#ASMEND
	;;#ASMSTART
	v_dot2_f32_f16 v37, v99, v103, v37
	;;#ASMEND
	;; [unrolled: 54-line block ×8, first 2 shown]
	s_barrier
	global_load_dwordx4 v[88:91], v[4:5], off offset:512
	global_load_dwordx4 v[92:95], v[2:3], off offset:512
	s_waitcnt vmcnt(1)
	ds_write_b128 v57, v[88:91]
	s_waitcnt vmcnt(0)
	ds_write_b128 v58, v[92:95]
	s_waitcnt lgkmcnt(0)
	s_barrier
	ds_read_b128 v[88:91], v60 offset:512
	ds_read_b128 v[92:95], v59 offset:16384
	ds_read_b128 v[96:99], v59 offset:20992
	ds_read_b128 v[100:103], v60 offset:1536
	s_waitcnt lgkmcnt(2)
	;;#ASMSTART
	v_dot2_f32_f16 v34, v92, v88, v34
	;;#ASMEND
	;;#ASMSTART
	v_dot2_f32_f16 v34, v93, v89, v34
	;;#ASMEND
	;;#ASMSTART
	v_dot2_f32_f16 v34, v94, v90, v34
	;;#ASMEND
	;;#ASMSTART
	v_dot2_f32_f16 v34, v95, v91, v34
	;;#ASMEND
	s_waitcnt lgkmcnt(0)
	;;#ASMSTART
	v_dot2_f32_f16 v36, v92, v100, v36
	;;#ASMEND
	;;#ASMSTART
	v_dot2_f32_f16 v36, v93, v101, v36
	;;#ASMEND
	;;#ASMSTART
	v_dot2_f32_f16 v36, v94, v102, v36
	;;#ASMEND
	;;#ASMSTART
	v_dot2_f32_f16 v36, v95, v103, v36
	;;#ASMEND
	;;#ASMSTART
	v_dot2_f32_f16 v35, v96, v88, v35
	;;#ASMEND
	;;#ASMSTART
	v_dot2_f32_f16 v35, v97, v89, v35
	;;#ASMEND
	;;#ASMSTART
	v_dot2_f32_f16 v35, v98, v90, v35
	;;#ASMEND
	;;#ASMSTART
	v_dot2_f32_f16 v35, v99, v91, v35
	;;#ASMEND
	;;#ASMSTART
	v_dot2_f32_f16 v37, v96, v100, v37
	;;#ASMEND
	;;#ASMSTART
	v_dot2_f32_f16 v37, v97, v101, v37
	;;#ASMEND
	;;#ASMSTART
	v_dot2_f32_f16 v37, v98, v102, v37
	;;#ASMEND
	;;#ASMSTART
	v_dot2_f32_f16 v37, v99, v103, v37
	;;#ASMEND
	ds_read_b128 v[88:91], v60 offset:528
	ds_read_b128 v[92:95], v59 offset:16400
	ds_read_b128 v[96:99], v59 offset:21008
	ds_read_b128 v[100:103], v60 offset:1552
	s_waitcnt lgkmcnt(2)
	;;#ASMSTART
	v_dot2_f32_f16 v34, v92, v88, v34
	;;#ASMEND
	;;#ASMSTART
	v_dot2_f32_f16 v34, v93, v89, v34
	;;#ASMEND
	;;#ASMSTART
	v_dot2_f32_f16 v34, v94, v90, v34
	;;#ASMEND
	;;#ASMSTART
	v_dot2_f32_f16 v34, v95, v91, v34
	;;#ASMEND
	s_waitcnt lgkmcnt(0)
	;;#ASMSTART
	v_dot2_f32_f16 v36, v92, v100, v36
	;;#ASMEND
	;;#ASMSTART
	v_dot2_f32_f16 v36, v93, v101, v36
	;;#ASMEND
	;;#ASMSTART
	v_dot2_f32_f16 v36, v94, v102, v36
	;;#ASMEND
	;;#ASMSTART
	v_dot2_f32_f16 v36, v95, v103, v36
	;;#ASMEND
	;;#ASMSTART
	v_dot2_f32_f16 v35, v96, v88, v35
	;;#ASMEND
	;;#ASMSTART
	v_dot2_f32_f16 v35, v97, v89, v35
	;;#ASMEND
	;;#ASMSTART
	v_dot2_f32_f16 v35, v98, v90, v35
	;;#ASMEND
	;;#ASMSTART
	v_dot2_f32_f16 v35, v99, v91, v35
	;;#ASMEND
	;;#ASMSTART
	v_dot2_f32_f16 v37, v96, v100, v37
	;;#ASMEND
	;;#ASMSTART
	v_dot2_f32_f16 v37, v97, v101, v37
	;;#ASMEND
	;;#ASMSTART
	v_dot2_f32_f16 v37, v98, v102, v37
	;;#ASMEND
	;;#ASMSTART
	v_dot2_f32_f16 v37, v99, v103, v37
	;;#ASMEND
	;; [unrolled: 54-line block ×8, first 2 shown]
	s_barrier
	global_load_dwordx4 v[88:91], v[4:5], off offset:640
	global_load_dwordx4 v[92:95], v[2:3], off offset:640
	s_waitcnt vmcnt(1)
	ds_write_b128 v57, v[88:91]
	s_waitcnt vmcnt(0)
	ds_write_b128 v58, v[92:95]
	s_waitcnt lgkmcnt(0)
	s_barrier
	ds_read_b128 v[88:91], v60 offset:640
	ds_read_b128 v[92:95], v59 offset:16384
	ds_read_b128 v[96:99], v59 offset:20992
	ds_read_b128 v[100:103], v60 offset:1664
	s_waitcnt lgkmcnt(2)
	;;#ASMSTART
	v_dot2_f32_f16 v34, v92, v88, v34
	;;#ASMEND
	;;#ASMSTART
	v_dot2_f32_f16 v34, v93, v89, v34
	;;#ASMEND
	;;#ASMSTART
	v_dot2_f32_f16 v34, v94, v90, v34
	;;#ASMEND
	;;#ASMSTART
	v_dot2_f32_f16 v34, v95, v91, v34
	;;#ASMEND
	s_waitcnt lgkmcnt(0)
	;;#ASMSTART
	v_dot2_f32_f16 v36, v92, v100, v36
	;;#ASMEND
	;;#ASMSTART
	v_dot2_f32_f16 v36, v93, v101, v36
	;;#ASMEND
	;;#ASMSTART
	v_dot2_f32_f16 v36, v94, v102, v36
	;;#ASMEND
	;;#ASMSTART
	v_dot2_f32_f16 v36, v95, v103, v36
	;;#ASMEND
	;;#ASMSTART
	v_dot2_f32_f16 v35, v96, v88, v35
	;;#ASMEND
	;;#ASMSTART
	v_dot2_f32_f16 v35, v97, v89, v35
	;;#ASMEND
	;;#ASMSTART
	v_dot2_f32_f16 v35, v98, v90, v35
	;;#ASMEND
	;;#ASMSTART
	v_dot2_f32_f16 v35, v99, v91, v35
	;;#ASMEND
	;;#ASMSTART
	v_dot2_f32_f16 v37, v96, v100, v37
	;;#ASMEND
	;;#ASMSTART
	v_dot2_f32_f16 v37, v97, v101, v37
	;;#ASMEND
	;;#ASMSTART
	v_dot2_f32_f16 v37, v98, v102, v37
	;;#ASMEND
	;;#ASMSTART
	v_dot2_f32_f16 v37, v99, v103, v37
	;;#ASMEND
	ds_read_b128 v[88:91], v60 offset:656
	ds_read_b128 v[92:95], v59 offset:16400
	ds_read_b128 v[96:99], v59 offset:21008
	ds_read_b128 v[100:103], v60 offset:1680
	s_waitcnt lgkmcnt(2)
	;;#ASMSTART
	v_dot2_f32_f16 v34, v92, v88, v34
	;;#ASMEND
	;;#ASMSTART
	v_dot2_f32_f16 v34, v93, v89, v34
	;;#ASMEND
	;;#ASMSTART
	v_dot2_f32_f16 v34, v94, v90, v34
	;;#ASMEND
	;;#ASMSTART
	v_dot2_f32_f16 v34, v95, v91, v34
	;;#ASMEND
	s_waitcnt lgkmcnt(0)
	;;#ASMSTART
	v_dot2_f32_f16 v36, v92, v100, v36
	;;#ASMEND
	;;#ASMSTART
	v_dot2_f32_f16 v36, v93, v101, v36
	;;#ASMEND
	;;#ASMSTART
	v_dot2_f32_f16 v36, v94, v102, v36
	;;#ASMEND
	;;#ASMSTART
	v_dot2_f32_f16 v36, v95, v103, v36
	;;#ASMEND
	;;#ASMSTART
	v_dot2_f32_f16 v35, v96, v88, v35
	;;#ASMEND
	;;#ASMSTART
	v_dot2_f32_f16 v35, v97, v89, v35
	;;#ASMEND
	;;#ASMSTART
	v_dot2_f32_f16 v35, v98, v90, v35
	;;#ASMEND
	;;#ASMSTART
	v_dot2_f32_f16 v35, v99, v91, v35
	;;#ASMEND
	;;#ASMSTART
	v_dot2_f32_f16 v37, v96, v100, v37
	;;#ASMEND
	;;#ASMSTART
	v_dot2_f32_f16 v37, v97, v101, v37
	;;#ASMEND
	;;#ASMSTART
	v_dot2_f32_f16 v37, v98, v102, v37
	;;#ASMEND
	;;#ASMSTART
	v_dot2_f32_f16 v37, v99, v103, v37
	;;#ASMEND
	;; [unrolled: 54-line block ×8, first 2 shown]
	s_barrier
	global_load_dwordx4 v[88:91], v[4:5], off offset:768
	global_load_dwordx4 v[92:95], v[2:3], off offset:768
	s_waitcnt vmcnt(1)
	ds_write_b128 v57, v[88:91]
	s_waitcnt vmcnt(0)
	ds_write_b128 v58, v[92:95]
	s_waitcnt lgkmcnt(0)
	s_barrier
	ds_read_b128 v[88:91], v60 offset:768
	ds_read_b128 v[92:95], v59 offset:16384
	ds_read_b128 v[96:99], v59 offset:20992
	ds_read_b128 v[100:103], v60 offset:1792
	s_waitcnt lgkmcnt(2)
	;;#ASMSTART
	v_dot2_f32_f16 v34, v92, v88, v34
	;;#ASMEND
	;;#ASMSTART
	v_dot2_f32_f16 v34, v93, v89, v34
	;;#ASMEND
	;;#ASMSTART
	v_dot2_f32_f16 v34, v94, v90, v34
	;;#ASMEND
	;;#ASMSTART
	v_dot2_f32_f16 v34, v95, v91, v34
	;;#ASMEND
	s_waitcnt lgkmcnt(0)
	;;#ASMSTART
	v_dot2_f32_f16 v36, v92, v100, v36
	;;#ASMEND
	;;#ASMSTART
	v_dot2_f32_f16 v36, v93, v101, v36
	;;#ASMEND
	;;#ASMSTART
	v_dot2_f32_f16 v36, v94, v102, v36
	;;#ASMEND
	;;#ASMSTART
	v_dot2_f32_f16 v36, v95, v103, v36
	;;#ASMEND
	;;#ASMSTART
	v_dot2_f32_f16 v35, v96, v88, v35
	;;#ASMEND
	;;#ASMSTART
	v_dot2_f32_f16 v35, v97, v89, v35
	;;#ASMEND
	;;#ASMSTART
	v_dot2_f32_f16 v35, v98, v90, v35
	;;#ASMEND
	;;#ASMSTART
	v_dot2_f32_f16 v35, v99, v91, v35
	;;#ASMEND
	;;#ASMSTART
	v_dot2_f32_f16 v37, v96, v100, v37
	;;#ASMEND
	;;#ASMSTART
	v_dot2_f32_f16 v37, v97, v101, v37
	;;#ASMEND
	;;#ASMSTART
	v_dot2_f32_f16 v37, v98, v102, v37
	;;#ASMEND
	;;#ASMSTART
	v_dot2_f32_f16 v37, v99, v103, v37
	;;#ASMEND
	ds_read_b128 v[88:91], v60 offset:784
	ds_read_b128 v[92:95], v59 offset:16400
	ds_read_b128 v[96:99], v59 offset:21008
	ds_read_b128 v[100:103], v60 offset:1808
	s_waitcnt lgkmcnt(2)
	;;#ASMSTART
	v_dot2_f32_f16 v34, v92, v88, v34
	;;#ASMEND
	;;#ASMSTART
	v_dot2_f32_f16 v34, v93, v89, v34
	;;#ASMEND
	;;#ASMSTART
	v_dot2_f32_f16 v34, v94, v90, v34
	;;#ASMEND
	;;#ASMSTART
	v_dot2_f32_f16 v34, v95, v91, v34
	;;#ASMEND
	s_waitcnt lgkmcnt(0)
	;;#ASMSTART
	v_dot2_f32_f16 v36, v92, v100, v36
	;;#ASMEND
	;;#ASMSTART
	v_dot2_f32_f16 v36, v93, v101, v36
	;;#ASMEND
	;;#ASMSTART
	v_dot2_f32_f16 v36, v94, v102, v36
	;;#ASMEND
	;;#ASMSTART
	v_dot2_f32_f16 v36, v95, v103, v36
	;;#ASMEND
	;;#ASMSTART
	v_dot2_f32_f16 v35, v96, v88, v35
	;;#ASMEND
	;;#ASMSTART
	v_dot2_f32_f16 v35, v97, v89, v35
	;;#ASMEND
	;;#ASMSTART
	v_dot2_f32_f16 v35, v98, v90, v35
	;;#ASMEND
	;;#ASMSTART
	v_dot2_f32_f16 v35, v99, v91, v35
	;;#ASMEND
	;;#ASMSTART
	v_dot2_f32_f16 v37, v96, v100, v37
	;;#ASMEND
	;;#ASMSTART
	v_dot2_f32_f16 v37, v97, v101, v37
	;;#ASMEND
	;;#ASMSTART
	v_dot2_f32_f16 v37, v98, v102, v37
	;;#ASMEND
	;;#ASMSTART
	v_dot2_f32_f16 v37, v99, v103, v37
	;;#ASMEND
	;; [unrolled: 54-line block ×8, first 2 shown]
	s_barrier
	global_load_dwordx4 v[88:91], v[4:5], off offset:896
	global_load_dwordx4 v[92:95], v[2:3], off offset:896
	s_waitcnt vmcnt(1)
	ds_write_b128 v57, v[88:91]
	s_waitcnt vmcnt(0)
	ds_write_b128 v58, v[92:95]
	s_waitcnt lgkmcnt(0)
	s_barrier
	ds_read_b128 v[2:5], v60 offset:896
	ds_read_b128 v[88:91], v59 offset:16384
	ds_read_b128 v[92:95], v59 offset:20992
	ds_read_b128 v[96:99], v60 offset:1920
	s_waitcnt lgkmcnt(2)
	;;#ASMSTART
	v_dot2_f32_f16 v34, v88, v2, v34
	;;#ASMEND
	;;#ASMSTART
	v_dot2_f32_f16 v34, v89, v3, v34
	;;#ASMEND
	;;#ASMSTART
	v_dot2_f32_f16 v34, v90, v4, v34
	;;#ASMEND
	;;#ASMSTART
	v_dot2_f32_f16 v34, v91, v5, v34
	;;#ASMEND
	s_waitcnt lgkmcnt(0)
	;;#ASMSTART
	v_dot2_f32_f16 v36, v88, v96, v36
	;;#ASMEND
	;;#ASMSTART
	v_dot2_f32_f16 v36, v89, v97, v36
	;;#ASMEND
	;;#ASMSTART
	v_dot2_f32_f16 v36, v90, v98, v36
	;;#ASMEND
	;;#ASMSTART
	v_dot2_f32_f16 v36, v91, v99, v36
	;;#ASMEND
	;;#ASMSTART
	v_dot2_f32_f16 v35, v92, v2, v35
	;;#ASMEND
	;;#ASMSTART
	v_dot2_f32_f16 v35, v93, v3, v35
	;;#ASMEND
	;;#ASMSTART
	v_dot2_f32_f16 v35, v94, v4, v35
	;;#ASMEND
	;;#ASMSTART
	v_dot2_f32_f16 v35, v95, v5, v35
	;;#ASMEND
	;;#ASMSTART
	v_dot2_f32_f16 v37, v92, v96, v37
	;;#ASMEND
	;;#ASMSTART
	v_dot2_f32_f16 v37, v93, v97, v37
	;;#ASMEND
	;;#ASMSTART
	v_dot2_f32_f16 v37, v94, v98, v37
	;;#ASMEND
	;;#ASMSTART
	v_dot2_f32_f16 v37, v95, v99, v37
	;;#ASMEND
	ds_read_b128 v[2:5], v60 offset:912
	ds_read_b128 v[88:91], v59 offset:16400
	ds_read_b128 v[92:95], v59 offset:21008
	ds_read_b128 v[96:99], v60 offset:1936
	s_waitcnt lgkmcnt(2)
	;;#ASMSTART
	v_dot2_f32_f16 v34, v88, v2, v34
	;;#ASMEND
	;;#ASMSTART
	v_dot2_f32_f16 v34, v89, v3, v34
	;;#ASMEND
	;;#ASMSTART
	v_dot2_f32_f16 v34, v90, v4, v34
	;;#ASMEND
	;;#ASMSTART
	v_dot2_f32_f16 v34, v91, v5, v34
	;;#ASMEND
	s_waitcnt lgkmcnt(0)
	;;#ASMSTART
	v_dot2_f32_f16 v36, v88, v96, v36
	;;#ASMEND
	;;#ASMSTART
	v_dot2_f32_f16 v36, v89, v97, v36
	;;#ASMEND
	;;#ASMSTART
	v_dot2_f32_f16 v36, v90, v98, v36
	;;#ASMEND
	;;#ASMSTART
	v_dot2_f32_f16 v36, v91, v99, v36
	;;#ASMEND
	;;#ASMSTART
	v_dot2_f32_f16 v35, v92, v2, v35
	;;#ASMEND
	;;#ASMSTART
	v_dot2_f32_f16 v35, v93, v3, v35
	;;#ASMEND
	;;#ASMSTART
	v_dot2_f32_f16 v35, v94, v4, v35
	;;#ASMEND
	;;#ASMSTART
	v_dot2_f32_f16 v35, v95, v5, v35
	;;#ASMEND
	;;#ASMSTART
	v_dot2_f32_f16 v37, v92, v96, v37
	;;#ASMEND
	;;#ASMSTART
	v_dot2_f32_f16 v37, v93, v97, v37
	;;#ASMEND
	;;#ASMSTART
	v_dot2_f32_f16 v37, v94, v98, v37
	;;#ASMEND
	;;#ASMSTART
	v_dot2_f32_f16 v37, v95, v99, v37
	;;#ASMEND
	;; [unrolled: 54-line block ×7, first 2 shown]
	ds_read_b128 v[2:5], v60 offset:1008
	ds_read_b128 v[88:91], v59 offset:16496
	;; [unrolled: 1-line block ×4, first 2 shown]
	s_waitcnt lgkmcnt(2)
	;;#ASMSTART
	v_dot2_f32_f16 v34, v88, v2, v34
	;;#ASMEND
	;;#ASMSTART
	v_dot2_f32_f16 v34, v89, v3, v34
	;;#ASMEND
	;; [unrolled: 3-line block ×4, first 2 shown]
	s_waitcnt lgkmcnt(0)
	;;#ASMSTART
	v_dot2_f32_f16 v36, v88, v96, v36
	;;#ASMEND
	;;#ASMSTART
	v_dot2_f32_f16 v36, v89, v97, v36
	;;#ASMEND
	;; [unrolled: 3-line block ×10, first 2 shown]
	v_mov_b32_e32 v39, s9
	v_add_co_u32_e64 v46, s[2:3], s8, v65
	v_mov_b32_e32 v41, s41
	v_add_co_u32_e64 v44, s[8:9], s40, v65
	;; [unrolled: 2-line block ×4, first 2 shown]
	;;#ASMSTART
	v_dot2_f32_f16 v37, v94, v98, v37
	;;#ASMEND
	v_addc_co_u32_e32 v51, vcc, v66, v6, vcc
	v_addc_co_u32_e64 v47, vcc, v66, v39, s[2:3]
	v_addc_co_u32_e64 v45, vcc, v66, v41, s[8:9]
	;; [unrolled: 1-line block ×4, first 2 shown]
	;;#ASMSTART
	v_dot2_f32_f16 v37, v95, v99, v37
	;;#ASMEND
	flat_load_ushort v54, v[0:1] offset:64
	flat_load_ushort v55, v[0:1]
	v_addc_co_u32_e64 v49, vcc, v66, v7, s[0:1]
	s_waitcnt lgkmcnt(0)
	s_barrier
	global_load_dwordx4 v[0:3], v[52:53], off
	global_load_dwordx4 v[4:7], v[52:53], off offset:512
	s_lshl_b64 s[10:11], s[10:11], 2
	v_mov_b32_e32 v43, s11
	v_add_co_u32_e64 v42, s[10:11], s10, v65
	v_addc_co_u32_e64 v43, vcc, v66, v43, s[10:11]
	s_waitcnt vmcnt(0)
	v_cvt_f32_f16_e32 v53, v54
	v_cvt_f32_f16_e32 v52, v55
	v_pk_add_f32 v[54:55], v[36:37], v[52:53]
	v_pk_add_f32 v[36:37], v[34:35], v[52:53]
	v_mov_b32_e32 v34, v36
	v_mov_b32_e32 v35, v54
	;; [unrolled: 1-line block ×4, first 2 shown]
	v_pk_add_f32 v[34:35], v[34:35], s[6:7] op_sel_hi:[1,0]
	v_pk_add_f32 v[52:53], v[52:53], s[6:7] op_sel_hi:[1,0]
	v_max3_f32 v34, v18, v34, v52
	v_max3_f32 v35, v19, v35, v53
	ds_bpermute_b32 v52, v87, v34
	ds_bpermute_b32 v53, v87, v35
	s_waitcnt lgkmcnt(1)
	v_max_f32_e32 v52, v52, v52
	s_waitcnt lgkmcnt(0)
	v_max_f32_e32 v53, v53, v53
	v_max_f32_e32 v34, v34, v52
	v_max_f32_e32 v35, v35, v53
	ds_bpermute_b32 v52, v86, v34
	ds_bpermute_b32 v53, v86, v35
	s_waitcnt lgkmcnt(1)
	v_max_f32_e32 v52, v52, v52
	s_waitcnt lgkmcnt(0)
	v_max_f32_e32 v53, v53, v53
	v_max_f32_e32 v34, v34, v52
	v_max_f32_e32 v35, v35, v53
	;; [unrolled: 8-line block ×5, first 2 shown]
	v_pk_add_f32 v[36:37], v[36:37], v[34:35] op_sel_hi:[1,0] neg_lo:[0,1] neg_hi:[0,1]
	v_pk_add_f32 v[52:53], v[18:19], v[34:35] neg_lo:[0,1] neg_hi:[0,1]
	v_mov_b32_e32 v84, v35
	v_mul_f32_e32 v85, 0x3fb8aa3b, v36
	v_mul_f32_e32 v83, 0x3fb8aa3b, v37
	v_pk_add_f32 v[54:55], v[54:55], v[84:85] op_sel_hi:[1,0] neg_lo:[0,1] neg_hi:[0,1]
	v_mul_f32_e32 v84, 0x3fb8aa3b, v53
	v_mul_f32_e32 v86, 0x3fb8aa3b, v52
	v_fma_f32 v87, v37, s31, -v83
	v_rndne_f32_e32 v88, v83
	v_fma_f32 v89, v36, s31, -v85
	v_rndne_f32_e32 v90, v85
	v_mul_f32_e32 v91, 0x3fb8aa3b, v55
	v_mul_f32_e32 v92, 0x3fb8aa3b, v54
	v_fma_f32 v93, v53, s31, -v84
	v_rndne_f32_e32 v94, v84
	v_fma_f32 v95, v52, s31, -v86
	v_rndne_f32_e32 v96, v86
	v_fmac_f32_e32 v87, 0x32a5705f, v37
	v_sub_f32_e32 v83, v83, v88
	v_fmac_f32_e32 v89, 0x32a5705f, v36
	v_sub_f32_e32 v85, v85, v90
	v_fma_f32 v97, v55, s31, -v91
	v_rndne_f32_e32 v98, v91
	v_fma_f32 v99, v54, s31, -v92
	v_rndne_f32_e32 v100, v92
	v_fmac_f32_e32 v93, 0x32a5705f, v53
	v_sub_f32_e32 v84, v84, v94
	v_fmac_f32_e32 v95, 0x32a5705f, v52
	v_sub_f32_e32 v86, v86, v96
	v_add_f32_e32 v83, v83, v87
	v_add_f32_e32 v85, v85, v89
	v_fmac_f32_e32 v97, 0x32a5705f, v55
	v_sub_f32_e32 v87, v91, v98
	v_fmac_f32_e32 v99, 0x32a5705f, v54
	v_sub_f32_e32 v91, v92, v100
	v_add_f32_e32 v84, v84, v93
	v_cvt_i32_f32_e32 v88, v88
	v_cvt_i32_f32_e32 v90, v90
	;; [unrolled: 1-line block ×3, first 2 shown]
	v_add_f32_e32 v86, v86, v95
	v_exp_f32_e32 v83, v83
	v_exp_f32_e32 v85, v85
	v_add_f32_e32 v87, v87, v97
	v_add_f32_e32 v91, v91, v99
	v_exp_f32_e32 v84, v84
	v_cvt_i32_f32_e32 v96, v96
	v_cvt_i32_f32_e32 v89, v98
	;; [unrolled: 1-line block ×3, first 2 shown]
	v_exp_f32_e32 v86, v86
	v_exp_f32_e32 v87, v87
	;; [unrolled: 1-line block ×3, first 2 shown]
	v_ldexp_f32 v83, v83, v88
	v_ldexp_f32 v85, v85, v90
	v_cmp_ngt_f32_e32 vcc, s37, v36
	v_ldexp_f32 v84, v84, v94
	v_cmp_ngt_f32_e64 s[0:1], s37, v53
	v_cmp_ngt_f32_e64 s[8:9], s37, v37
	v_ldexp_f32 v86, v86, v96
	v_cmp_ngt_f32_e64 s[2:3], s37, v52
	v_cndmask_b32_e64 v83, 0, v83, s[8:9]
	v_cndmask_b32_e32 v85, 0, v85, vcc
	v_cmp_nlt_f32_e32 vcc, s38, v36
	v_ldexp_f32 v87, v87, v89
	v_cmp_ngt_f32_e64 s[8:9], s37, v55
	v_ldexp_f32 v88, v91, v92
	v_cmp_ngt_f32_e64 s[10:11], s37, v54
	v_cndmask_b32_e64 v84, 0, v84, s[0:1]
	v_cmp_nlt_f32_e64 s[0:1], s38, v53
	v_cmp_nlt_f32_e64 s[12:13], s38, v37
	v_cndmask_b32_e64 v53, 0, v86, s[2:3]
	v_cmp_nlt_f32_e64 s[2:3], s38, v52
	v_cndmask_b32_e64 v36, v69, v83, s[12:13]
	v_cndmask_b32_e32 v52, v69, v85, vcc
	v_cndmask_b32_e64 v37, 0, v87, s[8:9]
	v_cndmask_b32_e64 v83, 0, v88, s[10:11]
	v_cmp_nlt_f32_e32 vcc, s38, v54
	v_cndmask_b32_e64 v85, v69, v84, s[0:1]
	v_cmp_nlt_f32_e64 s[0:1], s38, v55
	v_cndmask_b32_e64 v84, v69, v53, s[2:3]
	v_cndmask_b32_e64 v37, v69, v37, s[0:1]
	v_cndmask_b32_e32 v53, v69, v83, vcc
	v_cvt_f16_f32_e32 v86, v52
	v_cvt_f16_f32_e32 v87, v36
	v_pk_add_f32 v[54:55], v[52:53], v[36:37]
	v_cvt_f16_f32_e32 v36, v53
	v_cvt_f16_f32_e32 v37, v37
	;; [unrolled: 1-line block ×4, first 2 shown]
	v_pack_b32_f16 v36, v86, v36
	v_pack_b32_f16 v37, v87, v37
	v_pk_fma_f32 v[10:11], v[10:11], v[84:85], v[54:55]
	v_pk_mul_f16 v152, v150, v82 op_sel_hi:[0,1]
	ds_write2_b32 v70, v36, v37 offset1:32
	ds_write_b128 v62, v[0:3]
	ds_write_b128 v63, v[4:7]
	s_waitcnt lgkmcnt(0)
	s_barrier
	ds_read2_b64 v[0:3], v64 offset1:32
	ds_read2_b64 v[4:7], v64 offset0:64 offset1:96
	ds_read_b128 v[52:55], v61
	ds_read_b128 v[82:85], v61 offset:16
	ds_read2_b64 v[86:89], v64 offset0:128 offset1:160
	ds_read2_b64 v[90:93], v64 offset0:192 offset1:224
	ds_read2_b64 v[94:97], v71 offset1:32
	ds_read2_b64 v[98:101], v71 offset0:64 offset1:96
	ds_read2_b64 v[102:105], v71 offset0:128 offset1:160
	ds_read2_b64 v[106:109], v71 offset0:192 offset1:224
	ds_read2_b64 v[110:113], v72 offset1:32
	ds_read2_b64 v[114:117], v72 offset0:64 offset1:96
	;; [unrolled: 4-line block ×3, first 2 shown]
	ds_read2_b64 v[134:137], v73 offset0:128 offset1:160
	ds_read2_b64 v[138:141], v73 offset0:192 offset1:224
	s_waitcnt lgkmcnt(0)
	s_barrier
	global_load_dwordx4 v[142:145], v[50:51], off
	global_load_dwordx4 v[146:149], v[50:51], off offset:512
	v_pk_mul_f16 v32, v150, v32 op_sel_hi:[0,1]
	v_pk_mul_f16 v81, v150, v81 op_sel_hi:[0,1]
	;; [unrolled: 1-line block ×13, first 2 shown]
	v_pk_mul_f16 v0, v0, v52 op_sel:[0,1]
	v_pk_mul_f16 v37, v1, v52 op_sel_hi:[1,0]
	v_pk_fma_f16 v1, v1, v52, v24 op_sel:[0,1,0]
	v_pk_fma_f16 v24, v2, v52, v152 op_sel_hi:[1,0,1]
	v_pk_fma_f16 v2, v2, v52, v78 op_sel:[0,1,0]
	v_pk_fma_f16 v32, v3, v52, v32 op_sel_hi:[1,0,1]
	;; [unrolled: 2-line block ×7, first 2 shown]
	v_pk_fma_f16 v0, v151, v77, v0 op_sel_hi:[0,1,1]
	v_pk_fma_f16 v28, v150, v28, v37 op_sel_hi:[0,1,1]
	v_pk_fma_f16 v1, v87, v53, v1 op_sel:[0,1,0]
	v_pk_fma_f16 v24, v88, v53, v24 op_sel_hi:[1,0,1]
	v_pk_fma_f16 v2, v88, v53, v2 op_sel:[0,1,0]
	v_pk_fma_f16 v32, v89, v53, v32 op_sel_hi:[1,0,1]
	v_pk_fma_f16 v3, v89, v53, v3 op_sel:[0,1,0]
	v_pk_fma_f16 v22, v90, v53, v22 op_sel_hi:[1,0,1]
	v_pk_fma_f16 v4, v90, v53, v4 op_sel:[0,1,0]
	v_pk_fma_f16 v30, v91, v53, v30 op_sel_hi:[1,0,1]
	v_pk_fma_f16 v5, v91, v53, v5 op_sel:[0,1,0]
	v_pk_fma_f16 v20, v92, v53, v20 op_sel_hi:[1,0,1]
	v_pk_fma_f16 v6, v92, v53, v6 op_sel:[0,1,0]
	v_pk_fma_f16 v26, v93, v53, v26 op_sel_hi:[1,0,1]
	v_pk_fma_f16 v7, v93, v53, v7 op_sel:[0,1,0]
	v_pk_fma_f16 v36, v86, v53, v36 op_sel_hi:[1,0,1]
	v_pk_fma_f16 v0, v86, v53, v0 op_sel:[0,1,0]
	v_pk_fma_f16 v28, v87, v53, v28 op_sel_hi:[1,0,1]
	v_pk_fma_f16 v1, v95, v54, v1 op_sel:[0,1,0]
	v_pk_fma_f16 v24, v96, v54, v24 op_sel_hi:[1,0,1]
	v_pk_fma_f16 v2, v96, v54, v2 op_sel:[0,1,0]
	v_pk_fma_f16 v32, v97, v54, v32 op_sel_hi:[1,0,1]
	v_pk_fma_f16 v3, v97, v54, v3 op_sel:[0,1,0]
	v_pk_fma_f16 v22, v98, v54, v22 op_sel_hi:[1,0,1]
	v_pk_fma_f16 v4, v98, v54, v4 op_sel:[0,1,0]
	v_pk_fma_f16 v30, v99, v54, v30 op_sel_hi:[1,0,1]
	v_pk_fma_f16 v5, v99, v54, v5 op_sel:[0,1,0]
	v_pk_fma_f16 v20, v100, v54, v20 op_sel_hi:[1,0,1]
	v_pk_fma_f16 v6, v100, v54, v6 op_sel:[0,1,0]
	v_pk_fma_f16 v26, v101, v54, v26 op_sel_hi:[1,0,1]
	v_pk_fma_f16 v7, v101, v54, v7 op_sel:[0,1,0]
	v_pk_fma_f16 v36, v94, v54, v36 op_sel_hi:[1,0,1]
	v_pk_fma_f16 v0, v94, v54, v0 op_sel:[0,1,0]
	v_pk_fma_f16 v28, v95, v54, v28 op_sel_hi:[1,0,1]
	v_pk_fma_f16 v1, v103, v55, v1 op_sel:[0,1,0]
	v_pk_fma_f16 v24, v104, v55, v24 op_sel_hi:[1,0,1]
	v_pk_fma_f16 v2, v104, v55, v2 op_sel:[0,1,0]
	v_pk_fma_f16 v32, v105, v55, v32 op_sel_hi:[1,0,1]
	v_pk_fma_f16 v3, v105, v55, v3 op_sel:[0,1,0]
	v_pk_fma_f16 v22, v106, v55, v22 op_sel_hi:[1,0,1]
	v_pk_fma_f16 v4, v106, v55, v4 op_sel:[0,1,0]
	v_pk_fma_f16 v30, v107, v55, v30 op_sel_hi:[1,0,1]
	v_pk_fma_f16 v5, v107, v55, v5 op_sel:[0,1,0]
	v_pk_fma_f16 v20, v108, v55, v20 op_sel_hi:[1,0,1]
	v_pk_fma_f16 v6, v108, v55, v6 op_sel:[0,1,0]
	v_pk_fma_f16 v26, v109, v55, v26 op_sel_hi:[1,0,1]
	v_pk_fma_f16 v7, v109, v55, v7 op_sel:[0,1,0]
	v_pk_fma_f16 v36, v102, v55, v36 op_sel_hi:[1,0,1]
	v_pk_fma_f16 v0, v102, v55, v0 op_sel:[0,1,0]
	v_pk_fma_f16 v28, v103, v55, v28 op_sel_hi:[1,0,1]
	v_pk_fma_f16 v1, v111, v82, v1 op_sel:[0,1,0]
	v_pk_fma_f16 v24, v112, v82, v24 op_sel_hi:[1,0,1]
	v_pk_fma_f16 v2, v112, v82, v2 op_sel:[0,1,0]
	v_pk_fma_f16 v32, v113, v82, v32 op_sel_hi:[1,0,1]
	v_pk_fma_f16 v3, v113, v82, v3 op_sel:[0,1,0]
	v_pk_fma_f16 v22, v114, v82, v22 op_sel_hi:[1,0,1]
	v_pk_fma_f16 v4, v114, v82, v4 op_sel:[0,1,0]
	v_pk_fma_f16 v30, v115, v82, v30 op_sel_hi:[1,0,1]
	v_pk_fma_f16 v5, v115, v82, v5 op_sel:[0,1,0]
	v_pk_fma_f16 v20, v116, v82, v20 op_sel_hi:[1,0,1]
	v_pk_fma_f16 v6, v116, v82, v6 op_sel:[0,1,0]
	v_pk_fma_f16 v26, v117, v82, v26 op_sel_hi:[1,0,1]
	v_pk_fma_f16 v7, v117, v82, v7 op_sel:[0,1,0]
	v_pk_fma_f16 v36, v110, v82, v36 op_sel_hi:[1,0,1]
	v_pk_fma_f16 v0, v110, v82, v0 op_sel:[0,1,0]
	v_pk_fma_f16 v28, v111, v82, v28 op_sel_hi:[1,0,1]
	v_pk_fma_f16 v1, v119, v83, v1 op_sel:[0,1,0]
	v_pk_fma_f16 v24, v120, v83, v24 op_sel_hi:[1,0,1]
	v_pk_fma_f16 v2, v120, v83, v2 op_sel:[0,1,0]
	v_pk_fma_f16 v32, v121, v83, v32 op_sel_hi:[1,0,1]
	v_pk_fma_f16 v3, v121, v83, v3 op_sel:[0,1,0]
	v_pk_fma_f16 v22, v122, v83, v22 op_sel_hi:[1,0,1]
	v_pk_fma_f16 v4, v122, v83, v4 op_sel:[0,1,0]
	v_pk_fma_f16 v30, v123, v83, v30 op_sel_hi:[1,0,1]
	v_pk_fma_f16 v5, v123, v83, v5 op_sel:[0,1,0]
	v_pk_fma_f16 v20, v124, v83, v20 op_sel_hi:[1,0,1]
	v_pk_fma_f16 v6, v124, v83, v6 op_sel:[0,1,0]
	v_pk_fma_f16 v26, v125, v83, v26 op_sel_hi:[1,0,1]
	v_pk_fma_f16 v7, v125, v83, v7 op_sel:[0,1,0]
	v_pk_fma_f16 v36, v118, v83, v36 op_sel_hi:[1,0,1]
	v_pk_fma_f16 v0, v118, v83, v0 op_sel:[0,1,0]
	v_pk_fma_f16 v28, v119, v83, v28 op_sel_hi:[1,0,1]
	v_pk_fma_f16 v1, v127, v84, v1 op_sel:[0,1,0]
	v_pk_fma_f16 v24, v128, v84, v24 op_sel_hi:[1,0,1]
	v_pk_fma_f16 v2, v128, v84, v2 op_sel:[0,1,0]
	v_pk_fma_f16 v32, v129, v84, v32 op_sel_hi:[1,0,1]
	v_pk_fma_f16 v3, v129, v84, v3 op_sel:[0,1,0]
	v_pk_fma_f16 v22, v130, v84, v22 op_sel_hi:[1,0,1]
	v_pk_fma_f16 v4, v130, v84, v4 op_sel:[0,1,0]
	v_pk_fma_f16 v30, v131, v84, v30 op_sel_hi:[1,0,1]
	v_pk_fma_f16 v5, v131, v84, v5 op_sel:[0,1,0]
	v_pk_fma_f16 v20, v132, v84, v20 op_sel_hi:[1,0,1]
	v_pk_fma_f16 v6, v132, v84, v6 op_sel:[0,1,0]
	v_pk_fma_f16 v26, v133, v84, v26 op_sel_hi:[1,0,1]
	v_pk_fma_f16 v7, v133, v84, v7 op_sel:[0,1,0]
	v_pk_fma_f16 v36, v126, v84, v36 op_sel_hi:[1,0,1]
	v_pk_fma_f16 v0, v126, v84, v0 op_sel:[0,1,0]
	v_pk_fma_f16 v28, v127, v84, v28 op_sel_hi:[1,0,1]
	v_pk_fma_f16 v37, v135, v85, v1 op_sel:[0,1,0]
	v_pk_fma_f16 v24, v136, v85, v24 op_sel_hi:[1,0,1]
	v_pk_fma_f16 v54, v136, v85, v2 op_sel:[0,1,0]
	v_pk_fma_f16 v32, v137, v85, v32 op_sel_hi:[1,0,1]
	v_pk_fma_f16 v55, v137, v85, v3 op_sel:[0,1,0]
	v_pk_fma_f16 v22, v138, v85, v22 op_sel_hi:[1,0,1]
	v_pk_fma_f16 v150, v138, v85, v4 op_sel:[0,1,0]
	v_pk_fma_f16 v30, v139, v85, v30 op_sel_hi:[1,0,1]
	v_pk_fma_f16 v151, v139, v85, v5 op_sel:[0,1,0]
	v_pk_fma_f16 v20, v140, v85, v20 op_sel_hi:[1,0,1]
	v_pk_fma_f16 v152, v140, v85, v6 op_sel:[0,1,0]
	v_pk_fma_f16 v26, v141, v85, v26 op_sel_hi:[1,0,1]
	v_pk_fma_f16 v153, v141, v85, v7 op_sel:[0,1,0]
	v_pk_fma_f16 v36, v134, v85, v36 op_sel_hi:[1,0,1]
	v_pk_fma_f16 v154, v134, v85, v0 op_sel:[0,1,0]
	v_pk_fma_f16 v28, v135, v85, v28 op_sel_hi:[1,0,1]
	s_waitcnt vmcnt(1)
	ds_write_b128 v62, v[142:145]
	s_waitcnt vmcnt(0)
	ds_write_b128 v63, v[146:149]
	s_waitcnt lgkmcnt(0)
	s_barrier
	ds_read2_b64 v[0:3], v64 offset1:32
	ds_read2_b64 v[4:7], v64 offset0:64 offset1:96
	ds_read_b128 v[50:53], v61 offset:32
	ds_read_b128 v[74:77], v61 offset:48
	ds_read2_b64 v[78:81], v64 offset0:128 offset1:160
	ds_read2_b64 v[82:85], v64 offset0:192 offset1:224
	ds_read2_b64 v[86:89], v71 offset1:32
	ds_read2_b64 v[90:93], v71 offset0:64 offset1:96
	ds_read2_b64 v[94:97], v71 offset0:128 offset1:160
	ds_read2_b64 v[98:101], v71 offset0:192 offset1:224
	ds_read2_b64 v[102:105], v72 offset1:32
	ds_read2_b64 v[106:109], v72 offset0:64 offset1:96
	;; [unrolled: 4-line block ×3, first 2 shown]
	ds_read2_b64 v[126:129], v73 offset0:128 offset1:160
	ds_read2_b64 v[130:133], v73 offset0:192 offset1:224
	s_waitcnt lgkmcnt(0)
	s_barrier
	global_load_dwordx4 v[134:137], v[48:49], off
	global_load_dwordx4 v[138:141], v[48:49], off offset:512
	v_pk_fma_f16 v36, v0, v50, v36 op_sel_hi:[1,0,1]
	v_pk_fma_f16 v0, v0, v50, v154 op_sel:[0,1,0]
	v_pk_fma_f16 v28, v1, v50, v28 op_sel_hi:[1,0,1]
	v_pk_fma_f16 v1, v1, v50, v37 op_sel:[0,1,0]
	;; [unrolled: 2-line block ×64, first 2 shown]
	s_waitcnt vmcnt(1)
	ds_write_b128 v62, v[134:137]
	s_waitcnt vmcnt(0)
	ds_write_b128 v63, v[138:141]
	s_waitcnt lgkmcnt(0)
	s_barrier
	ds_read2_b64 v[0:3], v64 offset1:32
	ds_read2_b64 v[4:7], v64 offset0:64 offset1:96
	ds_read_b128 v[48:51], v61 offset:64
	ds_read_b128 v[52:55], v61 offset:80
	ds_read2_b64 v[74:77], v64 offset0:128 offset1:160
	ds_read2_b64 v[78:81], v64 offset0:192 offset1:224
	ds_read2_b64 v[82:85], v71 offset1:32
	ds_read2_b64 v[86:89], v71 offset0:64 offset1:96
	ds_read2_b64 v[90:93], v71 offset0:128 offset1:160
	ds_read2_b64 v[94:97], v71 offset0:192 offset1:224
	ds_read2_b64 v[98:101], v72 offset1:32
	ds_read2_b64 v[102:105], v72 offset0:64 offset1:96
	;; [unrolled: 4-line block ×3, first 2 shown]
	ds_read2_b64 v[122:125], v73 offset0:128 offset1:160
	ds_read2_b64 v[126:129], v73 offset0:192 offset1:224
	s_waitcnt lgkmcnt(0)
	s_barrier
	global_load_dwordx4 v[130:133], v[46:47], off
	global_load_dwordx4 v[134:137], v[46:47], off offset:512
	v_pk_fma_f16 v36, v0, v48, v36 op_sel_hi:[1,0,1]
	v_pk_fma_f16 v0, v0, v48, v37 op_sel:[0,1,0]
	v_pk_fma_f16 v28, v1, v48, v28 op_sel_hi:[1,0,1]
	v_pk_fma_f16 v1, v1, v48, v142 op_sel:[0,1,0]
	;; [unrolled: 2-line block ×64, first 2 shown]
	s_waitcnt vmcnt(1)
	ds_write_b128 v62, v[130:133]
	s_waitcnt vmcnt(0)
	ds_write_b128 v63, v[134:137]
	s_waitcnt lgkmcnt(0)
	s_barrier
	ds_read2_b64 v[0:3], v64 offset1:32
	ds_read2_b64 v[4:7], v64 offset0:64 offset1:96
	ds_read_b128 v[46:49], v61 offset:96
	ds_read_b128 v[50:53], v61 offset:112
	ds_read2_b64 v[74:77], v64 offset0:128 offset1:160
	ds_read2_b64 v[78:81], v64 offset0:192 offset1:224
	ds_read2_b64 v[82:85], v71 offset1:32
	ds_read2_b64 v[86:89], v71 offset0:64 offset1:96
	ds_read2_b64 v[90:93], v71 offset0:128 offset1:160
	ds_read2_b64 v[94:97], v71 offset0:192 offset1:224
	ds_read2_b64 v[98:101], v72 offset1:32
	ds_read2_b64 v[102:105], v72 offset0:64 offset1:96
	;; [unrolled: 4-line block ×3, first 2 shown]
	ds_read2_b64 v[122:125], v73 offset0:128 offset1:160
	ds_read2_b64 v[126:129], v73 offset0:192 offset1:224
	s_waitcnt lgkmcnt(0)
	s_barrier
	global_load_dwordx4 v[130:133], v[44:45], off
	global_load_dwordx4 v[134:137], v[44:45], off offset:512
	v_pk_fma_f16 v36, v0, v46, v36 op_sel_hi:[1,0,1]
	v_pk_fma_f16 v0, v0, v46, v37 op_sel:[0,1,0]
	v_pk_fma_f16 v28, v1, v46, v28 op_sel_hi:[1,0,1]
	v_pk_fma_f16 v1, v1, v46, v54 op_sel:[0,1,0]
	;; [unrolled: 2-line block ×64, first 2 shown]
	s_waitcnt vmcnt(1)
	ds_write_b128 v62, v[130:133]
	s_waitcnt vmcnt(0)
	ds_write_b128 v63, v[134:137]
	s_waitcnt lgkmcnt(0)
	s_barrier
	ds_read2_b64 v[0:3], v64 offset1:32
	ds_read2_b64 v[4:7], v64 offset0:64 offset1:96
	ds_read_b128 v[44:47], v61 offset:128
	ds_read_b128 v[48:51], v61 offset:144
	ds_read2_b64 v[52:55], v64 offset0:128 offset1:160
	ds_read2_b64 v[74:77], v64 offset0:192 offset1:224
	ds_read2_b64 v[78:81], v71 offset1:32
	ds_read2_b64 v[82:85], v71 offset0:64 offset1:96
	ds_read2_b64 v[86:89], v71 offset0:128 offset1:160
	ds_read2_b64 v[90:93], v71 offset0:192 offset1:224
	ds_read2_b64 v[94:97], v72 offset1:32
	ds_read2_b64 v[98:101], v72 offset0:64 offset1:96
	;; [unrolled: 4-line block ×3, first 2 shown]
	ds_read2_b64 v[118:121], v73 offset0:128 offset1:160
	ds_read2_b64 v[122:125], v73 offset0:192 offset1:224
	s_waitcnt lgkmcnt(0)
	s_barrier
	global_load_dwordx4 v[126:129], v[42:43], off
	global_load_dwordx4 v[130:133], v[42:43], off offset:512
	v_pk_fma_f16 v36, v0, v44, v36 op_sel_hi:[1,0,1]
	v_pk_fma_f16 v0, v0, v44, v37 op_sel:[0,1,0]
	v_pk_fma_f16 v28, v1, v44, v28 op_sel_hi:[1,0,1]
	v_pk_fma_f16 v1, v1, v44, v138 op_sel:[0,1,0]
	;; [unrolled: 2-line block ×64, first 2 shown]
	s_waitcnt vmcnt(1)
	ds_write_b128 v62, v[126:129]
	s_waitcnt vmcnt(0)
	ds_write_b128 v63, v[130:133]
	s_waitcnt lgkmcnt(0)
	s_barrier
	ds_read2_b64 v[0:3], v64 offset1:32
	ds_read2_b64 v[4:7], v64 offset0:64 offset1:96
	ds_read_b128 v[42:45], v61 offset:160
	ds_read_b128 v[46:49], v61 offset:176
	ds_read2_b64 v[50:53], v64 offset0:128 offset1:160
	ds_read2_b64 v[74:77], v64 offset0:192 offset1:224
	ds_read2_b64 v[78:81], v71 offset1:32
	ds_read2_b64 v[82:85], v71 offset0:64 offset1:96
	ds_read2_b64 v[86:89], v71 offset0:128 offset1:160
	ds_read2_b64 v[90:93], v71 offset0:192 offset1:224
	ds_read2_b64 v[94:97], v72 offset1:32
	ds_read2_b64 v[98:101], v72 offset0:64 offset1:96
	;; [unrolled: 4-line block ×3, first 2 shown]
	ds_read2_b64 v[118:121], v73 offset0:128 offset1:160
	ds_read2_b64 v[122:125], v73 offset0:192 offset1:224
	s_waitcnt lgkmcnt(0)
	s_barrier
	global_load_dwordx4 v[126:129], v[40:41], off
	global_load_dwordx4 v[130:133], v[40:41], off offset:512
	v_pk_fma_f16 v36, v0, v42, v36 op_sel_hi:[1,0,1]
	v_pk_fma_f16 v0, v0, v42, v37 op_sel:[0,1,0]
	v_pk_fma_f16 v28, v1, v42, v28 op_sel_hi:[1,0,1]
	v_pk_fma_f16 v1, v1, v42, v54 op_sel:[0,1,0]
	;; [unrolled: 2-line block ×64, first 2 shown]
	s_waitcnt vmcnt(1)
	ds_write_b128 v62, v[126:129]
	s_waitcnt vmcnt(0)
	ds_write_b128 v63, v[130:133]
	s_waitcnt lgkmcnt(0)
	s_barrier
	ds_read2_b64 v[0:3], v64 offset1:32
	ds_read2_b64 v[4:7], v64 offset0:64 offset1:96
	ds_read_b128 v[40:43], v61 offset:192
	ds_read_b128 v[44:47], v61 offset:208
	ds_read2_b64 v[48:51], v64 offset0:128 offset1:160
	ds_read2_b64 v[52:55], v64 offset0:192 offset1:224
	ds_read2_b64 v[74:77], v71 offset1:32
	ds_read2_b64 v[78:81], v71 offset0:64 offset1:96
	ds_read2_b64 v[82:85], v71 offset0:128 offset1:160
	ds_read2_b64 v[86:89], v71 offset0:192 offset1:224
	ds_read2_b64 v[90:93], v72 offset1:32
	ds_read2_b64 v[94:97], v72 offset0:64 offset1:96
	;; [unrolled: 4-line block ×3, first 2 shown]
	ds_read2_b64 v[114:117], v73 offset0:128 offset1:160
	ds_read2_b64 v[118:121], v73 offset0:192 offset1:224
	s_waitcnt lgkmcnt(0)
	s_barrier
	global_load_dwordx4 v[122:125], v[38:39], off
	s_nop 0
	global_load_dwordx4 v[36:39], v[38:39], off offset:512
	v_pk_fma_f16 v126, v0, v40, v134 op_sel_hi:[1,0,1]
	v_pk_fma_f16 v0, v0, v40, v135 op_sel:[0,1,0]
	v_pk_fma_f16 v28, v1, v40, v28 op_sel_hi:[1,0,1]
	v_pk_fma_f16 v1, v1, v40, v136 op_sel:[0,1,0]
	;; [unrolled: 2-line block ×64, first 2 shown]
	s_waitcnt vmcnt(1)
	ds_write_b128 v62, v[122:125]
	s_waitcnt vmcnt(0)
	ds_write_b128 v63, v[36:39]
	s_waitcnt lgkmcnt(0)
	s_barrier
	ds_read2_b64 v[0:3], v64 offset1:32
	ds_read2_b64 v[4:7], v64 offset0:64 offset1:96
	ds_read_b128 v[36:39], v61 offset:224
	ds_read_b128 v[40:43], v61 offset:240
	ds_read2_b64 v[44:47], v64 offset0:128 offset1:160
	ds_read2_b64 v[48:51], v64 offset0:192 offset1:224
	ds_read2_b64 v[52:55], v71 offset1:32
	ds_read2_b64 v[74:77], v71 offset0:64 offset1:96
	ds_read2_b64 v[78:81], v71 offset0:128 offset1:160
	ds_read2_b64 v[82:85], v71 offset0:192 offset1:224
	ds_read2_b64 v[86:89], v72 offset1:32
	ds_read2_b64 v[90:93], v72 offset0:64 offset1:96
	;; [unrolled: 4-line block ×3, first 2 shown]
	ds_read2_b64 v[110:113], v73 offset0:128 offset1:160
	ds_read2_b64 v[114:117], v73 offset0:192 offset1:224
	s_waitcnt lgkmcnt(0)
	s_barrier
	s_load_dword s0, s[18:19], 0x4
	v_pk_fma_f16 v122, v0, v36, v126 op_sel_hi:[1,0,1]
	v_pk_fma_f16 v0, v0, v36, v127 op_sel:[0,1,0]
	v_pk_fma_f16 v28, v1, v36, v28 op_sel_hi:[1,0,1]
	v_pk_fma_f16 v1, v1, v36, v128 op_sel:[0,1,0]
	;; [unrolled: 2-line block ×40, first 2 shown]
	s_waitcnt lgkmcnt(0)
	s_lshl_b32 s0, s0, 6
	v_pk_fma_f16 v36, v94, v41, v36 op_sel_hi:[1,0,1]
	v_pk_fma_f16 v0, v94, v41, v0 op_sel:[0,1,0]
	v_pk_fma_f16 v28, v95, v41, v28 op_sel_hi:[1,0,1]
	v_pk_fma_f16 v1, v95, v41, v1 op_sel:[0,1,0]
	;; [unrolled: 2-line block ×8, first 2 shown]
	s_add_i32 s24, s0, s24
	v_pk_fma_f16 v36, v102, v42, v36 op_sel_hi:[1,0,1]
	v_pk_fma_f16 v0, v102, v42, v0 op_sel:[0,1,0]
	v_pk_fma_f16 v28, v103, v42, v28 op_sel_hi:[1,0,1]
	v_pk_fma_f16 v1, v103, v42, v1 op_sel:[0,1,0]
	;; [unrolled: 2-line block ×8, first 2 shown]
	v_mov_b32_e32 v18, v34
	v_mov_b32_e32 v19, v35
	s_cmp_ge_i32 s24, s28
	v_pk_fma_f16 v80, v110, v43, v36 op_sel_hi:[1,0,1]
	v_pk_fma_f16 v77, v110, v43, v0 op_sel:[0,1,0]
	v_pk_fma_f16 v28, v111, v43, v28 op_sel_hi:[1,0,1]
	v_pk_fma_f16 v24, v111, v43, v1 op_sel:[0,1,0]
	;; [unrolled: 2-line block ×8, first 2 shown]
	s_cbranch_scc0 .LBB5_9
.LBB5_10:
	v_cmp_lt_i32_e32 vcc, v56, v25
	v_cndmask_b32_e32 v0, v13, v56, vcc
	v_lshlrev_b32_e32 v1, 2, v0
	ds_bpermute_b32 v0, v1, v10
	ds_bpermute_b32 v1, v1, v11
	v_cmp_lt_i32_e32 vcc, v33, v25
	v_cndmask_b32_e32 v2, v13, v33, vcc
	v_lshlrev_b32_e32 v3, 2, v2
	v_cmp_lt_i32_e32 vcc, v31, v25
	s_waitcnt lgkmcnt(0)
	v_pk_add_f32 v[0:1], v[10:11], v[0:1]
	ds_bpermute_b32 v2, v3, v0
	ds_bpermute_b32 v3, v3, v1
	v_cndmask_b32_e32 v4, v13, v31, vcc
	v_lshlrev_b32_e32 v4, 2, v4
	v_cmp_lt_i32_e32 vcc, v29, v25
	s_cmp_lg_u64 s[16:17], 0
	s_waitcnt lgkmcnt(0)
	v_pk_add_f32 v[0:1], v[0:1], v[2:3]
	ds_bpermute_b32 v2, v4, v0
	ds_bpermute_b32 v3, v4, v1
	v_cndmask_b32_e32 v4, v13, v29, vcc
	v_lshlrev_b32_e32 v4, 2, v4
	v_cmp_lt_i32_e32 vcc, v27, v25
	s_cselect_b64 s[0:1], -1, 0
	s_waitcnt lgkmcnt(0)
	v_pk_add_f32 v[0:1], v[0:1], v[2:3]
	ds_bpermute_b32 v2, v4, v0
	ds_bpermute_b32 v3, v4, v1
	v_cndmask_b32_e32 v4, v13, v27, vcc
	v_lshlrev_b32_e32 v4, 2, v4
	s_cmp_eq_u32 s7, 0
	s_cselect_b64 s[2:3], -1, 0
	s_waitcnt lgkmcnt(0)
	v_pk_add_f32 v[0:1], v[0:1], v[2:3]
	ds_bpermute_b32 v2, v4, v0
	ds_bpermute_b32 v3, v4, v1
	s_and_b64 s[0:1], s[2:3], s[0:1]
	s_and_b64 vcc, exec, s[0:1]
	s_waitcnt lgkmcnt(0)
	v_pk_add_f32 v[0:1], v[0:1], v[2:3]
	s_cbranch_vccz .LBB5_12
; %bb.11:
	v_add_u32_e32 v2, s29, v21
	v_ashrrev_i32_e32 v3, 31, v2
	v_lshlrev_b64 v[2:3], 2, v[2:3]
	v_mov_b32_e32 v4, s17
	v_add_co_u32_e32 v2, vcc, s16, v2
	v_addc_co_u32_e32 v3, vcc, v4, v3, vcc
	global_load_dwordx2 v[2:3], v[2:3], off
	v_max_f32_e32 v4, v35, v35
	v_max_f32_e32 v6, v34, v34
	s_mov_b32 s0, 0x3fb8aa3b
	s_mov_b32 s1, 0xc2ce8ed0
	;; [unrolled: 1-line block ×3, first 2 shown]
	v_mov_b32_e32 v10, 0x7f800000
	s_waitcnt vmcnt(0)
	v_max_f32_e32 v5, v3, v3
	v_max_f32_e32 v7, v2, v2
	;; [unrolled: 1-line block ×4, first 2 shown]
	v_pk_add_f32 v[6:7], v[34:35], v[4:5] neg_lo:[0,1] neg_hi:[0,1]
	v_mul_f32_e32 v11, 0x3fb8aa3b, v7
	v_pk_add_f32 v[2:3], v[2:3], v[4:5] neg_lo:[0,1] neg_hi:[0,1]
	v_mul_f32_e32 v12, 0x3fb8aa3b, v6
	v_fma_f32 v15, v7, s0, -v11
	v_rndne_f32_e32 v16, v11
	v_mul_f32_e32 v13, 0x3fb8aa3b, v3
	v_fma_f32 v17, v6, s0, -v12
	v_rndne_f32_e32 v18, v12
	v_fmac_f32_e32 v15, 0x32a5705f, v7
	v_sub_f32_e32 v11, v11, v16
	v_mul_f32_e32 v14, 0x3fb8aa3b, v2
	v_fma_f32 v19, v3, s0, -v13
	v_rndne_f32_e32 v25, v13
	v_fmac_f32_e32 v17, 0x32a5705f, v6
	v_sub_f32_e32 v12, v12, v18
	v_add_f32_e32 v11, v11, v15
	v_fma_f32 v27, v2, s0, -v14
	v_rndne_f32_e32 v29, v14
	v_cvt_i32_f32_e32 v16, v16
	v_fmac_f32_e32 v19, 0x32a5705f, v3
	v_sub_f32_e32 v13, v13, v25
	v_add_f32_e32 v12, v12, v17
	v_exp_f32_e32 v11, v11
	v_cvt_i32_f32_e32 v18, v18
	v_fmac_f32_e32 v27, 0x32a5705f, v2
	v_sub_f32_e32 v14, v14, v29
	v_add_f32_e32 v13, v13, v19
	v_exp_f32_e32 v12, v12
	v_cvt_i32_f32_e32 v25, v25
	v_add_f32_e32 v14, v14, v27
	v_exp_f32_e32 v13, v13
	v_cvt_i32_f32_e32 v29, v29
	v_exp_f32_e32 v14, v14
	v_ldexp_f32 v11, v11, v16
	v_cmp_ngt_f32_e32 vcc, s1, v7
	v_ldexp_f32 v12, v12, v18
	v_cndmask_b32_e32 v11, 0, v11, vcc
	v_cmp_ngt_f32_e32 vcc, s1, v6
	v_ldexp_f32 v13, v13, v25
	v_cndmask_b32_e32 v12, 0, v12, vcc
	;; [unrolled: 3-line block ×3, first 2 shown]
	v_cmp_ngt_f32_e32 vcc, s1, v2
	v_cndmask_b32_e32 v14, 0, v14, vcc
	v_cmp_nlt_f32_e32 vcc, s2, v7
	v_cndmask_b32_e32 v7, v10, v11, vcc
	v_cmp_nlt_f32_e32 vcc, s2, v6
	;; [unrolled: 2-line block ×4, first 2 shown]
	v_cndmask_b32_e32 v2, v10, v14, vcc
	v_cvt_f16_f32_e32 v11, v6
	v_pk_fma_f32 v[0:1], v[0:1], v[6:7], v[2:3]
	v_cvt_f16_f32_e32 v2, v7
	v_pk_mov_b32 v[34:35], v[4:5], v[4:5] op_sel:[0,1]
	v_pk_mul_f16 v80, v11, v80 op_sel_hi:[0,1]
	v_pk_mul_f16 v28, v11, v28 op_sel_hi:[0,1]
	;; [unrolled: 1-line block ×16, first 2 shown]
.LBB5_12:
	v_cmp_gt_i32_e32 vcc, s26, v9
	s_and_saveexec_b64 s[0:1], vcc
	s_cbranch_execz .LBB5_21
; %bb.13:
	s_load_dword s6, s[4:5], 0xd4
	v_mov_b32_e32 v4, 1.0
	s_waitcnt lgkmcnt(0)
	s_cmp_lg_u32 s6, 1
	s_cselect_b64 s[0:1], -1, 0
	s_cmp_eq_u32 s6, 1
	s_cselect_b64 s[2:3], -1, 0
	s_and_b64 vcc, exec, s[0:1]
	s_cbranch_vccnz .LBB5_15
; %bb.14:
	v_div_scale_f32 v2, s[4:5], v0, v0, 1.0
	v_rcp_f32_e32 v3, v2
	v_div_scale_f32 v4, vcc, 1.0, v0, 1.0
	v_fma_f32 v5, -v2, v3, 1.0
	v_fmac_f32_e32 v3, v5, v3
	v_mul_f32_e32 v5, v4, v3
	v_fma_f32 v6, -v2, v5, v4
	v_fmac_f32_e32 v5, v6, v3
	v_fma_f32 v2, -v2, v5, v4
	v_div_fmas_f32 v2, v2, v3, v5
	v_div_fixup_f32 v4, v2, v0, 1.0
.LBB5_15:
	s_mul_i32 s33, s33, s26
	v_add_u32_e32 v2, s33, v9
	v_mul_lo_u32 v2, v2, s27
	v_add3_u32 v2, s29, v21, v2
	v_mul_lo_u32 v2, s6, v2
	v_cmp_eq_u32_e32 vcc, 0, v8
	v_add_u32_e32 v2, s7, v2
	v_cvt_f32_f16_sdwa v9, v80 dst_sel:DWORD dst_unused:UNUSED_PAD src0_sel:WORD_1
	v_cvt_f32_f16_e32 v8, v80
	v_cvt_f32_f16_sdwa v13, v28 dst_sel:DWORD dst_unused:UNUSED_PAD src0_sel:WORD_1
	v_cvt_f32_f16_e32 v12, v28
	v_lshl_add_u32 v10, v2, 9, v23
	v_mov_b32_e32 v11, 0
	v_lshlrev_b64 v[6:7], 2, v[10:11]
	s_and_b64 s[0:1], vcc, s[0:1]
	v_mov_b32_e32 v3, s21
	v_add_co_u32_e32 v14, vcc, s20, v6
	v_addc_co_u32_e32 v15, vcc, v3, v7, vcc
	v_pk_mul_f32 v[6:7], v[4:5], v[8:9] op_sel_hi:[0,1]
	v_pk_mul_f32 v[8:9], v[4:5], v[12:13] op_sel_hi:[0,1]
	global_store_dwordx4 v[14:15], v[6:9], off
	v_cvt_f32_f16_sdwa v13, v32 dst_sel:DWORD dst_unused:UNUSED_PAD src0_sel:WORD_1
	v_cvt_f32_f16_sdwa v9, v82 dst_sel:DWORD dst_unused:UNUSED_PAD src0_sel:WORD_1
	v_cvt_f32_f16_e32 v8, v82
	v_cvt_f32_f16_e32 v12, v32
	v_add_u32_e32 v6, 0x80, v10
	v_mov_b32_e32 v7, v11
	v_lshlrev_b64 v[6:7], 2, v[6:7]
	v_add_co_u32_e32 v14, vcc, s20, v6
	v_addc_co_u32_e32 v15, vcc, v3, v7, vcc
	v_pk_mul_f32 v[6:7], v[4:5], v[8:9] op_sel_hi:[0,1]
	v_pk_mul_f32 v[8:9], v[4:5], v[12:13] op_sel_hi:[0,1]
	global_store_dwordx4 v[14:15], v[6:9], off
	v_cvt_f32_f16_sdwa v13, v30 dst_sel:DWORD dst_unused:UNUSED_PAD src0_sel:WORD_1
	v_cvt_f32_f16_sdwa v9, v81 dst_sel:DWORD dst_unused:UNUSED_PAD src0_sel:WORD_1
	v_cvt_f32_f16_e32 v8, v81
	v_cvt_f32_f16_e32 v12, v30
	v_add_u32_e32 v6, 0x100, v10
	v_mov_b32_e32 v7, v11
	v_lshlrev_b64 v[6:7], 2, v[6:7]
	v_add_co_u32_e32 v14, vcc, s20, v6
	v_addc_co_u32_e32 v15, vcc, v3, v7, vcc
	v_pk_mul_f32 v[6:7], v[4:5], v[8:9] op_sel_hi:[0,1]
	v_pk_mul_f32 v[8:9], v[4:5], v[12:13] op_sel_hi:[0,1]
	v_add_u32_e32 v10, 0x180, v10
	global_store_dwordx4 v[14:15], v[6:9], off
	s_nop 0
	v_lshlrev_b64 v[6:7], 2, v[10:11]
	v_cvt_f32_f16_sdwa v9, v79 dst_sel:DWORD dst_unused:UNUSED_PAD src0_sel:WORD_1
	v_cvt_f32_f16_e32 v8, v79
	v_cvt_f32_f16_sdwa v11, v26 dst_sel:DWORD dst_unused:UNUSED_PAD src0_sel:WORD_1
	v_cvt_f32_f16_e32 v10, v26
	v_add_co_u32_e32 v12, vcc, s20, v6
	v_addc_co_u32_e32 v13, vcc, v3, v7, vcc
	v_pk_mul_f32 v[6:7], v[4:5], v[8:9] op_sel_hi:[0,1]
	v_pk_mul_f32 v[8:9], v[4:5], v[10:11] op_sel_hi:[0,1]
	global_store_dwordx4 v[12:13], v[6:9], off
	s_and_saveexec_b64 s[4:5], s[0:1]
	s_cbranch_execz .LBB5_17
; %bb.16:
	v_ashrrev_i32_e32 v3, 31, v2
	v_lshlrev_b64 v[4:5], 3, v[2:3]
	v_mov_b32_e32 v3, s23
	v_add_co_u32_e32 v4, vcc, s22, v4
	v_addc_co_u32_e32 v5, vcc, v3, v5, vcc
	v_mov_b32_e32 v6, v34
	v_mov_b32_e32 v7, v0
	global_store_dwordx2 v[4:5], v[6:7], off
.LBB5_17:
	s_or_b64 exec, exec, s[4:5]
	s_andn2_b64 vcc, exec, s[2:3]
	v_mov_b32_e32 v0, 1.0
	s_cbranch_vccnz .LBB5_19
; %bb.18:
	v_div_scale_f32 v0, s[2:3], v1, v1, 1.0
	v_rcp_f32_e32 v3, v0
	v_div_scale_f32 v4, vcc, 1.0, v1, 1.0
	v_fma_f32 v5, -v0, v3, 1.0
	v_fmac_f32_e32 v3, v5, v3
	v_mul_f32_e32 v5, v4, v3
	v_fma_f32 v6, -v0, v5, v4
	v_fmac_f32_e32 v5, v6, v3
	v_fma_f32 v0, -v0, v5, v4
	v_div_fmas_f32 v0, v0, v3, v5
	v_div_fixup_f32 v0, v0, v1, 1.0
.LBB5_19:
	v_add_u32_e32 v2, s6, v2
	v_cvt_f32_f16_sdwa v7, v77 dst_sel:DWORD dst_unused:UNUSED_PAD src0_sel:WORD_1
	v_cvt_f32_f16_e32 v6, v77
	v_cvt_f32_f16_sdwa v11, v24 dst_sel:DWORD dst_unused:UNUSED_PAD src0_sel:WORD_1
	v_cvt_f32_f16_e32 v10, v24
	v_lshl_add_u32 v8, v2, 9, v23
	v_mov_b32_e32 v9, 0
	v_lshlrev_b64 v[4:5], 2, v[8:9]
	v_mov_b32_e32 v3, s21
	v_add_co_u32_e32 v12, vcc, s20, v4
	v_addc_co_u32_e32 v13, vcc, v3, v5, vcc
	v_pk_mul_f32 v[4:5], v[0:1], v[6:7] op_sel_hi:[0,1]
	v_pk_mul_f32 v[6:7], v[0:1], v[10:11] op_sel_hi:[0,1]
	global_store_dwordx4 v[12:13], v[4:7], off
	v_cvt_f32_f16_sdwa v11, v22 dst_sel:DWORD dst_unused:UNUSED_PAD src0_sel:WORD_1
	v_cvt_f32_f16_sdwa v7, v78 dst_sel:DWORD dst_unused:UNUSED_PAD src0_sel:WORD_1
	v_cvt_f32_f16_e32 v6, v78
	v_cvt_f32_f16_e32 v10, v22
	v_add_u32_e32 v4, 0x80, v8
	v_mov_b32_e32 v5, v9
	v_lshlrev_b64 v[4:5], 2, v[4:5]
	v_add_co_u32_e32 v12, vcc, s20, v4
	v_addc_co_u32_e32 v13, vcc, v3, v5, vcc
	v_pk_mul_f32 v[4:5], v[0:1], v[6:7] op_sel_hi:[0,1]
	v_pk_mul_f32 v[6:7], v[0:1], v[10:11] op_sel_hi:[0,1]
	global_store_dwordx4 v[12:13], v[4:7], off
	v_cvt_f32_f16_sdwa v11, v20 dst_sel:DWORD dst_unused:UNUSED_PAD src0_sel:WORD_1
	v_cvt_f32_f16_sdwa v7, v76 dst_sel:DWORD dst_unused:UNUSED_PAD src0_sel:WORD_1
	v_cvt_f32_f16_e32 v6, v76
	v_cvt_f32_f16_e32 v10, v20
	v_add_u32_e32 v4, 0x100, v8
	v_mov_b32_e32 v5, v9
	v_lshlrev_b64 v[4:5], 2, v[4:5]
	v_add_co_u32_e32 v12, vcc, s20, v4
	v_addc_co_u32_e32 v13, vcc, v3, v5, vcc
	v_pk_mul_f32 v[4:5], v[0:1], v[6:7] op_sel_hi:[0,1]
	v_pk_mul_f32 v[6:7], v[0:1], v[10:11] op_sel_hi:[0,1]
	v_add_u32_e32 v8, 0x180, v8
	global_store_dwordx4 v[12:13], v[4:7], off
	s_nop 0
	v_lshlrev_b64 v[4:5], 2, v[8:9]
	v_cvt_f32_f16_sdwa v7, v75 dst_sel:DWORD dst_unused:UNUSED_PAD src0_sel:WORD_1
	v_cvt_f32_f16_e32 v6, v75
	v_cvt_f32_f16_sdwa v9, v74 dst_sel:DWORD dst_unused:UNUSED_PAD src0_sel:WORD_1
	v_cvt_f32_f16_e32 v8, v74
	v_add_co_u32_e32 v10, vcc, s20, v4
	v_addc_co_u32_e32 v11, vcc, v3, v5, vcc
	v_pk_mul_f32 v[4:5], v[0:1], v[6:7] op_sel_hi:[0,1]
	v_pk_mul_f32 v[6:7], v[0:1], v[8:9] op_sel_hi:[0,1]
	global_store_dwordx4 v[10:11], v[4:7], off
	s_and_b64 exec, exec, s[0:1]
	s_cbranch_execz .LBB5_21
; %bb.20:
	v_ashrrev_i32_e32 v3, 31, v2
	v_lshlrev_b64 v[2:3], 3, v[2:3]
	v_mov_b32_e32 v0, s23
	v_add_co_u32_e32 v2, vcc, s22, v2
	v_addc_co_u32_e32 v3, vcc, v0, v3, vcc
	v_mov_b32_e32 v0, v35
	global_store_dwordx2 v[2:3], v[0:1], off
.LBB5_21:
	s_endpgm
	.section	.rodata,"a",@progbits
	.p2align	6, 0x0
	.amdhsa_kernel _ZL15flash_attn_tileILi512ELi512ELi2ELi8ELb0EEvPKcS1_S1_S1_S1_PKiPfP15HIP_vector_typeIfLj2EEffffjfiS5_IjLj3EEiiiiiiiiiiiliiliiiiil
		.amdhsa_group_segment_fixed_size 27648
		.amdhsa_private_segment_fixed_size 0
		.amdhsa_kernarg_size 464
		.amdhsa_user_sgpr_count 6
		.amdhsa_user_sgpr_private_segment_buffer 1
		.amdhsa_user_sgpr_dispatch_ptr 0
		.amdhsa_user_sgpr_queue_ptr 0
		.amdhsa_user_sgpr_kernarg_segment_ptr 1
		.amdhsa_user_sgpr_dispatch_id 0
		.amdhsa_user_sgpr_flat_scratch_init 0
		.amdhsa_user_sgpr_kernarg_preload_length 0
		.amdhsa_user_sgpr_kernarg_preload_offset 0
		.amdhsa_user_sgpr_private_segment_size 0
		.amdhsa_uses_dynamic_stack 0
		.amdhsa_system_sgpr_private_segment_wavefront_offset 0
		.amdhsa_system_sgpr_workgroup_id_x 1
		.amdhsa_system_sgpr_workgroup_id_y 1
		.amdhsa_system_sgpr_workgroup_id_z 1
		.amdhsa_system_sgpr_workgroup_info 0
		.amdhsa_system_vgpr_workitem_id 1
		.amdhsa_next_free_vgpr 155
		.amdhsa_next_free_sgpr 46
		.amdhsa_accum_offset 156
		.amdhsa_reserve_vcc 1
		.amdhsa_reserve_flat_scratch 0
		.amdhsa_float_round_mode_32 0
		.amdhsa_float_round_mode_16_64 0
		.amdhsa_float_denorm_mode_32 3
		.amdhsa_float_denorm_mode_16_64 3
		.amdhsa_dx10_clamp 1
		.amdhsa_ieee_mode 1
		.amdhsa_fp16_overflow 0
		.amdhsa_tg_split 0
		.amdhsa_exception_fp_ieee_invalid_op 0
		.amdhsa_exception_fp_denorm_src 0
		.amdhsa_exception_fp_ieee_div_zero 0
		.amdhsa_exception_fp_ieee_overflow 0
		.amdhsa_exception_fp_ieee_underflow 0
		.amdhsa_exception_fp_ieee_inexact 0
		.amdhsa_exception_int_div_zero 0
	.end_amdhsa_kernel
	.section	.text._ZL15flash_attn_tileILi512ELi512ELi2ELi8ELb0EEvPKcS1_S1_S1_S1_PKiPfP15HIP_vector_typeIfLj2EEffffjfiS5_IjLj3EEiiiiiiiiiiiliiliiiiil,"axG",@progbits,_ZL15flash_attn_tileILi512ELi512ELi2ELi8ELb0EEvPKcS1_S1_S1_S1_PKiPfP15HIP_vector_typeIfLj2EEffffjfiS5_IjLj3EEiiiiiiiiiiiliiliiiiil,comdat
.Lfunc_end5:
	.size	_ZL15flash_attn_tileILi512ELi512ELi2ELi8ELb0EEvPKcS1_S1_S1_S1_PKiPfP15HIP_vector_typeIfLj2EEffffjfiS5_IjLj3EEiiiiiiiiiiiliiliiiiil, .Lfunc_end5-_ZL15flash_attn_tileILi512ELi512ELi2ELi8ELb0EEvPKcS1_S1_S1_S1_PKiPfP15HIP_vector_typeIfLj2EEffffjfiS5_IjLj3EEiiiiiiiiiiiliiliiiiil
                                        ; -- End function
	.section	.AMDGPU.csdata,"",@progbits
; Kernel info:
; codeLenInByte = 26348
; NumSgprs: 50
; NumVgprs: 155
; NumAgprs: 0
; TotalNumVgprs: 155
; ScratchSize: 0
; MemoryBound: 0
; FloatMode: 240
; IeeeMode: 1
; LDSByteSize: 27648 bytes/workgroup (compile time only)
; SGPRBlocks: 6
; VGPRBlocks: 19
; NumSGPRsForWavesPerEU: 50
; NumVGPRsForWavesPerEU: 155
; AccumOffset: 156
; Occupancy: 2
; WaveLimiterHint : 1
; COMPUTE_PGM_RSRC2:SCRATCH_EN: 0
; COMPUTE_PGM_RSRC2:USER_SGPR: 6
; COMPUTE_PGM_RSRC2:TRAP_HANDLER: 0
; COMPUTE_PGM_RSRC2:TGID_X_EN: 1
; COMPUTE_PGM_RSRC2:TGID_Y_EN: 1
; COMPUTE_PGM_RSRC2:TGID_Z_EN: 1
; COMPUTE_PGM_RSRC2:TIDIG_COMP_CNT: 1
; COMPUTE_PGM_RSRC3_GFX90A:ACCUM_OFFSET: 38
; COMPUTE_PGM_RSRC3_GFX90A:TG_SPLIT: 0
	.section	.text._ZL25flash_attn_mask_to_KV_maxILi2EEvPK7__half2Piiii,"axG",@progbits,_ZL25flash_attn_mask_to_KV_maxILi2EEvPK7__half2Piiii,comdat
	.globl	_ZL25flash_attn_mask_to_KV_maxILi2EEvPK7__half2Piiii ; -- Begin function _ZL25flash_attn_mask_to_KV_maxILi2EEvPK7__half2Piiii
	.p2align	8
	.type	_ZL25flash_attn_mask_to_KV_maxILi2EEvPK7__half2Piiii,@function
_ZL25flash_attn_mask_to_KV_maxILi2EEvPK7__half2Piiii: ; @_ZL25flash_attn_mask_to_KV_maxILi2EEvPK7__half2Piiii
; %bb.0:
	s_load_dwordx4 s[8:11], s[4:5], 0x0
	v_cmp_gt_u32_e32 vcc, 32, v0
	s_and_saveexec_b64 s[0:1], vcc
	s_cbranch_execz .LBB6_2
; %bb.1:
	v_lshlrev_b32_e32 v1, 2, v0
	v_mov_b32_e32 v2, 1
	ds_write_b32 v1, v2
.LBB6_2:
	s_or_b64 exec, exec, s[0:1]
	s_load_dwordx4 s[12:15], s[4:5], 0x10
	s_load_dword s16, s[4:5], 0x20
	v_and_b32_e32 v2, 31, v0
	v_lshlrev_b32_e32 v4, 2, v2
	v_lshrrev_b32_e32 v1, 3, v0
	s_waitcnt lgkmcnt(0)
	s_mul_i32 s1, s6, s13
	s_mul_i32 s0, s7, s14
	s_lshl_b32 s1, s1, 1
	s_add_i32 s0, s0, s1
	s_ashr_i32 s1, s0, 31
	s_lshl_b64 s[0:1], s[0:1], 2
	s_add_u32 s17, s8, s0
	s_addc_u32 s18, s9, s1
	v_cmp_eq_u32_e64 s[0:1], 0, v2
	v_mbcnt_lo_u32_b32 v2, -1, 0
	v_mbcnt_hi_u32_b32 v5, -1, v2
	v_and_b32_e32 v2, 0x60, v5
	s_lshl_b32 s12, s12, 8
	s_mov_b64 s[4:5], 0
	v_mov_b32_e32 v3, 0
	s_movk_i32 s19, 0x204
	s_movk_i32 s20, 0x7fff
	;; [unrolled: 1-line block ×3, first 2 shown]
	v_add_u32_e32 v6, 32, v2
	v_xor_b32_e32 v7, 16, v5
	v_xor_b32_e32 v8, 8, v5
	;; [unrolled: 1-line block ×5, first 2 shown]
	s_barrier
	s_waitcnt lgkmcnt(0)
                                        ; implicit-def: $sgpr2_sgpr3
	s_branch .LBB6_5
.LBB6_3:                                ;   in Loop: Header=BB6_5 Depth=1
	s_or_b64 exec, exec, s[8:9]
	s_waitcnt lgkmcnt(0)
	s_barrier
	ds_read_b32 v16, v4
	s_waitcnt lgkmcnt(0)
	s_barrier
	ds_bpermute_b32 v2, v2, v16
	v_cmp_ne_u32_e32 vcc, 0, v16
	s_waitcnt lgkmcnt(0)
	v_cmp_ne_u32_e64 s[2:3], 0, v2
	s_and_b64 s[2:3], vcc, s[2:3]
	v_cndmask_b32_e64 v2, 0, 1, s[2:3]
	ds_bpermute_b32 v2, v12, v2
	s_waitcnt lgkmcnt(0)
	v_cmp_ne_u32_e32 vcc, 0, v2
	s_and_b64 s[2:3], vcc, s[2:3]
	v_cndmask_b32_e64 v2, 0, 1, s[2:3]
	ds_bpermute_b32 v2, v13, v2
	s_waitcnt lgkmcnt(0)
	v_cmp_ne_u32_e32 vcc, 0, v2
	s_and_b64 s[2:3], vcc, s[2:3]
	v_cndmask_b32_e64 v2, 0, 1, s[2:3]
	ds_bpermute_b32 v2, v14, v2
	s_waitcnt lgkmcnt(0)
	v_cmp_ne_u32_e32 vcc, 0, v2
	s_and_b64 s[2:3], vcc, s[2:3]
	v_cndmask_b32_e64 v2, 0, 1, s[2:3]
	ds_bpermute_b32 v2, v15, v2
	s_xor_b64 s[2:3], s[2:3], -1
	s_waitcnt lgkmcnt(0)
	v_cmp_eq_u32_e32 vcc, 0, v2
	s_or_b64 s[2:3], vcc, s[2:3]
.LBB6_4:                                ;   in Loop: Header=BB6_5 Depth=1
	s_and_b64 s[8:9], exec, s[2:3]
	s_or_b64 s[4:5], s[8:9], s[4:5]
	v_mov_b32_e32 v2, s12
	s_mov_b32 s12, s22
	s_andn2_b64 exec, exec, s[4:5]
	s_cbranch_execz .LBB6_12
.LBB6_5:                                ; =>This Inner Loop Header: Depth=1
	s_add_i32 s22, s12, 0xffffff00
	s_or_b64 s[2:3], s[2:3], exec
	s_cmp_lt_i32 s22, 0
	s_cbranch_scc1 .LBB6_4
; %bb.6:                                ;   in Loop: Header=BB6_5 Depth=1
	s_lshr_b32 s2, s22, 1
	v_add_u32_e32 v2, s2, v0
	v_lshlrev_b64 v[12:13], 2, v[2:3]
	v_mov_b32_e32 v14, s18
	v_add_co_u32_e32 v12, vcc, s17, v12
	v_addc_co_u32_e32 v13, vcc, v14, v13, vcc
	global_load_dword v12, v[12:13], off
	s_mov_b64 s[8:9], 0
	s_waitcnt vmcnt(0)
	v_cmp_class_f16_e64 s[2:3], v12, s19
	v_and_b32_sdwa v12, s20, v12 dst_sel:DWORD dst_unused:UNUSED_PAD src0_sel:DWORD src1_sel:WORD_1
	v_cmp_eq_f16_e32 vcc, s21, v12
	s_and_b64 s[14:15], s[2:3], vcc
	s_and_saveexec_b64 s[2:3], s[14:15]
	s_cbranch_execz .LBB6_10
; %bb.7:                                ;   in Loop: Header=BB6_5 Depth=1
	v_add_u32_e32 v12, s13, v2
	v_ashrrev_i32_e32 v13, 31, v12
	v_lshlrev_b64 v[12:13], 2, v[12:13]
	v_mov_b32_e32 v2, s18
	v_add_co_u32_e32 v12, vcc, s17, v12
	v_addc_co_u32_e32 v13, vcc, v2, v13, vcc
	global_load_dword v2, v[12:13], off
	s_waitcnt vmcnt(0)
	v_cmp_class_f16_e64 s[24:25], v2, s19
	s_and_saveexec_b64 s[14:15], s[24:25]
; %bb.8:                                ;   in Loop: Header=BB6_5 Depth=1
	v_cmp_class_f16_sdwa s[8:9], v2, s19 src0_sel:WORD_1 src1_sel:DWORD
	s_and_b64 s[8:9], s[8:9], exec
; %bb.9:                                ;   in Loop: Header=BB6_5 Depth=1
	s_or_b64 exec, exec, s[14:15]
	s_and_b64 s[8:9], s[8:9], exec
.LBB6_10:                               ;   in Loop: Header=BB6_5 Depth=1
	s_or_b64 exec, exec, s[2:3]
	v_cmp_lt_i32_e32 vcc, v7, v6
	v_cndmask_b32_e32 v2, v5, v7, vcc
	v_cndmask_b32_e64 v12, 0, 1, s[8:9]
	v_lshlrev_b32_e32 v2, 2, v2
	ds_bpermute_b32 v12, v2, v12
	s_waitcnt lgkmcnt(0)
	v_cmp_ne_u32_e32 vcc, 0, v12
	s_and_b64 s[2:3], s[8:9], vcc
	v_cmp_lt_i32_e32 vcc, v8, v6
	v_cndmask_b32_e32 v12, v5, v8, vcc
	v_cndmask_b32_e64 v13, 0, 1, s[2:3]
	v_lshlrev_b32_e32 v12, 2, v12
	ds_bpermute_b32 v13, v12, v13
	s_waitcnt lgkmcnt(0)
	v_cmp_ne_u32_e32 vcc, 0, v13
	s_and_b64 s[2:3], vcc, s[2:3]
	v_cmp_lt_i32_e32 vcc, v9, v6
	v_cndmask_b32_e32 v13, v5, v9, vcc
	v_cndmask_b32_e64 v14, 0, 1, s[2:3]
	v_lshlrev_b32_e32 v13, 2, v13
	ds_bpermute_b32 v14, v13, v14
	s_waitcnt lgkmcnt(0)
	v_cmp_ne_u32_e32 vcc, 0, v14
	s_and_b64 s[2:3], vcc, s[2:3]
	v_cmp_lt_i32_e32 vcc, v10, v6
	v_cndmask_b32_e32 v14, v5, v10, vcc
	v_cndmask_b32_e64 v15, 0, 1, s[2:3]
	v_lshlrev_b32_e32 v14, 2, v14
	ds_bpermute_b32 v15, v14, v15
	s_waitcnt lgkmcnt(0)
	v_cmp_ne_u32_e32 vcc, 0, v15
	s_and_b64 s[2:3], vcc, s[2:3]
	v_cmp_lt_i32_e32 vcc, v11, v6
	v_cndmask_b32_e32 v15, v5, v11, vcc
	v_cndmask_b32_e64 v16, 0, 1, s[2:3]
	v_lshlrev_b32_e32 v15, 2, v15
	ds_bpermute_b32 v16, v15, v16
	s_and_saveexec_b64 s[8:9], s[0:1]
	s_cbranch_execz .LBB6_3
; %bb.11:                               ;   in Loop: Header=BB6_5 Depth=1
	s_waitcnt lgkmcnt(0)
	v_cmp_ne_u32_e32 vcc, 0, v16
	s_and_b64 s[2:3], vcc, s[2:3]
	v_cndmask_b32_e64 v16, 0, 1, s[2:3]
	ds_write_b32 v1, v16
	s_branch .LBB6_3
.LBB6_12:
	s_or_b64 exec, exec, s[4:5]
	v_cmp_eq_u32_e32 vcc, 0, v0
	s_and_saveexec_b64 s[0:1], vcc
	s_cbranch_execz .LBB6_14
; %bb.13:
	s_mul_i32 s0, s16, s7
	s_add_i32 s0, s0, s6
	s_ashr_i32 s1, s0, 31
	s_lshl_b64 s[0:1], s[0:1], 2
	s_add_u32 s0, s10, s0
	s_addc_u32 s1, s11, s1
	v_mov_b32_e32 v0, 0
	global_store_dword v0, v2, s[0:1]
.LBB6_14:
	s_endpgm
	.section	.rodata,"a",@progbits
	.p2align	6, 0x0
	.amdhsa_kernel _ZL25flash_attn_mask_to_KV_maxILi2EEvPK7__half2Piiii
		.amdhsa_group_segment_fixed_size 128
		.amdhsa_private_segment_fixed_size 0
		.amdhsa_kernarg_size 288
		.amdhsa_user_sgpr_count 6
		.amdhsa_user_sgpr_private_segment_buffer 1
		.amdhsa_user_sgpr_dispatch_ptr 0
		.amdhsa_user_sgpr_queue_ptr 0
		.amdhsa_user_sgpr_kernarg_segment_ptr 1
		.amdhsa_user_sgpr_dispatch_id 0
		.amdhsa_user_sgpr_flat_scratch_init 0
		.amdhsa_user_sgpr_kernarg_preload_length 0
		.amdhsa_user_sgpr_kernarg_preload_offset 0
		.amdhsa_user_sgpr_private_segment_size 0
		.amdhsa_uses_dynamic_stack 0
		.amdhsa_system_sgpr_private_segment_wavefront_offset 0
		.amdhsa_system_sgpr_workgroup_id_x 1
		.amdhsa_system_sgpr_workgroup_id_y 1
		.amdhsa_system_sgpr_workgroup_id_z 0
		.amdhsa_system_sgpr_workgroup_info 0
		.amdhsa_system_vgpr_workitem_id 0
		.amdhsa_next_free_vgpr 17
		.amdhsa_next_free_sgpr 26
		.amdhsa_accum_offset 20
		.amdhsa_reserve_vcc 1
		.amdhsa_reserve_flat_scratch 0
		.amdhsa_float_round_mode_32 0
		.amdhsa_float_round_mode_16_64 0
		.amdhsa_float_denorm_mode_32 3
		.amdhsa_float_denorm_mode_16_64 3
		.amdhsa_dx10_clamp 1
		.amdhsa_ieee_mode 1
		.amdhsa_fp16_overflow 0
		.amdhsa_tg_split 0
		.amdhsa_exception_fp_ieee_invalid_op 0
		.amdhsa_exception_fp_denorm_src 0
		.amdhsa_exception_fp_ieee_div_zero 0
		.amdhsa_exception_fp_ieee_overflow 0
		.amdhsa_exception_fp_ieee_underflow 0
		.amdhsa_exception_fp_ieee_inexact 0
		.amdhsa_exception_int_div_zero 0
	.end_amdhsa_kernel
	.section	.text._ZL25flash_attn_mask_to_KV_maxILi2EEvPK7__half2Piiii,"axG",@progbits,_ZL25flash_attn_mask_to_KV_maxILi2EEvPK7__half2Piiii,comdat
.Lfunc_end6:
	.size	_ZL25flash_attn_mask_to_KV_maxILi2EEvPK7__half2Piiii, .Lfunc_end6-_ZL25flash_attn_mask_to_KV_maxILi2EEvPK7__half2Piiii
                                        ; -- End function
	.section	.AMDGPU.csdata,"",@progbits
; Kernel info:
; codeLenInByte = 848
; NumSgprs: 30
; NumVgprs: 17
; NumAgprs: 0
; TotalNumVgprs: 17
; ScratchSize: 0
; MemoryBound: 0
; FloatMode: 240
; IeeeMode: 1
; LDSByteSize: 128 bytes/workgroup (compile time only)
; SGPRBlocks: 3
; VGPRBlocks: 2
; NumSGPRsForWavesPerEU: 30
; NumVGPRsForWavesPerEU: 17
; AccumOffset: 20
; Occupancy: 8
; WaveLimiterHint : 0
; COMPUTE_PGM_RSRC2:SCRATCH_EN: 0
; COMPUTE_PGM_RSRC2:USER_SGPR: 6
; COMPUTE_PGM_RSRC2:TRAP_HANDLER: 0
; COMPUTE_PGM_RSRC2:TGID_X_EN: 1
; COMPUTE_PGM_RSRC2:TGID_Y_EN: 1
; COMPUTE_PGM_RSRC2:TGID_Z_EN: 0
; COMPUTE_PGM_RSRC2:TIDIG_COMP_CNT: 0
; COMPUTE_PGM_RSRC3_GFX90A:ACCUM_OFFSET: 4
; COMPUTE_PGM_RSRC3_GFX90A:TG_SPLIT: 0
	.section	.text._ZL33flash_attn_stream_k_fixup_uniformILi512ELi2ELi8EEvPfPK15HIP_vector_typeIfLj2EEiiiiiiS1_IjLj3EES5_S5_,"axG",@progbits,_ZL33flash_attn_stream_k_fixup_uniformILi512ELi2ELi8EEvPfPK15HIP_vector_typeIfLj2EEiiiiiiS1_IjLj3EES5_S5_,comdat
	.globl	_ZL33flash_attn_stream_k_fixup_uniformILi512ELi2ELi8EEvPfPK15HIP_vector_typeIfLj2EEiiiiiiS1_IjLj3EES5_S5_ ; -- Begin function _ZL33flash_attn_stream_k_fixup_uniformILi512ELi2ELi8EEvPfPK15HIP_vector_typeIfLj2EEiiiiiiS1_IjLj3EES5_S5_
	.p2align	8
	.type	_ZL33flash_attn_stream_k_fixup_uniformILi512ELi2ELi8EEvPfPK15HIP_vector_typeIfLj2EEiiiiiiS1_IjLj3EES5_S5_,@function
_ZL33flash_attn_stream_k_fixup_uniformILi512ELi2ELi8EEvPfPK15HIP_vector_typeIfLj2EEiiiiiiS1_IjLj3EES5_S5_: ; @_ZL33flash_attn_stream_k_fixup_uniformILi512ELi2ELi8EEvPfPK15HIP_vector_typeIfLj2EEiiiiiiS1_IjLj3EES5_S5_
; %bb.0:
	s_load_dwordx8 s[12:19], s[4:5], 0x1c
	s_load_dwordx2 s[10:11], s[4:5], 0x10
	s_load_dwordx4 s[0:3], s[4:5], 0x3c
	s_waitcnt lgkmcnt(0)
	s_mul_hi_u32 s9, s15, s6
	s_add_i32 s9, s6, s9
	s_lshr_b32 s9, s9, s16
	s_mul_i32 s15, s9, s17
	s_sub_i32 s15, s6, s15
	s_mul_hi_u32 s16, s15, s18
	s_add_i32 s16, s15, s16
	s_lshr_b32 s16, s16, s19
	s_mul_i32 s0, s16, s0
	s_sub_i32 s0, s15, s0
	s_mul_hi_u32 s1, s0, s1
	s_add_i32 s1, s0, s1
	s_lshr_b32 s1, s1, s2
	s_mul_i32 s2, s1, s3
	s_sub_i32 s17, s0, s2
	s_lshl_b32 s0, s17, 1
	s_lshl_b32 s15, s1, 3
	s_add_i32 s0, s0, s7
	s_cmp_lt_i32 s0, s10
	s_cselect_b64 s[0:1], -1, 0
	s_add_i32 s2, s15, s8
	s_cmp_lt_i32 s2, s13
	s_cselect_b64 s[2:3], -1, 0
	s_and_b64 s[0:1], s[0:1], s[2:3]
	s_andn2_b64 vcc, exec, s[0:1]
	s_cbranch_vccnz .LBB7_6
; %bb.1:
	s_load_dwordx4 s[0:3], s[4:5], 0x0
	s_mul_i32 s4, s9, s10
	s_add_i32 s4, s4, s7
	s_mul_i32 s4, s4, s11
	s_mul_i32 s16, s16, s13
	s_add_i32 s4, s4, s8
	s_add_i32 s4, s4, s16
	s_mul_i32 s5, s11, s17
	s_add_i32 s4, s4, s15
	s_lshl_b32 s5, s5, 10
	s_lshl_b32 s4, s4, 9
	s_add_i32 s5, s5, s4
	v_or_b32_e32 v2, s5, v0
	v_ashrrev_i32_e32 v3, 31, v2
	v_lshlrev_b64 v[2:3], 2, v[2:3]
	s_waitcnt lgkmcnt(0)
	v_mov_b32_e32 v1, s1
	v_add_co_u32_e32 v2, vcc, s0, v2
	v_addc_co_u32_e32 v3, vcc, v1, v3, vcc
	global_load_dword v8, v[2:3], off
	s_mul_i32 s9, s6, s14
	s_lshl_b32 s4, s7, 3
	s_add_i32 s11, s9, s14
	s_add_i32 s0, s4, s8
	s_lshl_b32 s1, s11, 4
	s_add_i32 s0, s0, s1
	s_add_i32 s0, s0, -16
	s_ashr_i32 s1, s0, 31
	s_lshl_b64 s[0:1], s[0:1], 3
	s_add_u32 s0, s2, s0
	s_addc_u32 s1, s3, s1
	s_load_dword s5, s[0:1], 0x4
	s_add_i32 s10, s11, -2
	s_cmp_lt_i32 s10, s9
	s_cbranch_scc1 .LBB7_4
; %bb.2:
	s_lshl_b32 s16, s12, 6
	s_ashr_i32 s17, s16, 31
	s_lshl_b64 s[16:17], s[16:17], 2
	s_add_u32 s10, s2, s16
	s_addc_u32 s13, s3, s17
	s_add_i32 s6, s6, 1
	s_load_dword s0, s[0:1], 0x0
	s_mul_i32 s1, s14, s6
	s_lshl_b32 s7, s7, 12
	s_lshl_b32 s14, s8, 9
	s_lshl_b32 s6, s1, 13
	s_add_i32 s7, s14, s7
	s_lshl_b32 s1, s1, 4
	s_add_i32 s7, s7, s6
	s_add_i32 s1, s8, s1
	s_lshl_b32 s6, s12, 4
	s_add_i32 s1, s1, s6
	v_or_b32_e32 v0, s7, v0
	s_add_i32 s1, s1, s4
	s_add_i32 s11, s11, -1
	v_add_u32_e32 v0, 0xffffc000, v0
	s_sub_i32 s4, s1, 32
	s_waitcnt lgkmcnt(0)
	v_mov_b32_e32 v7, s5
	v_mov_b32_e32 v6, s0
	;; [unrolled: 1-line block ×3, first 2 shown]
	s_mov_b32 s6, 0x3fb8aa3b
	s_mov_b32 s7, 0xc2ce8ed0
	s_mov_b32 s8, 0x42b17218
	v_mov_b32_e32 v5, 0x7f800000
	s_mov_b32 s12, 0xc1a00000
.LBB7_3:                                ; =>This Inner Loop Header: Depth=1
	v_ashrrev_i32_e32 v1, 31, v0
	v_lshlrev_b64 v[10:11], 2, v[0:1]
	v_add_co_u32_e32 v10, vcc, s10, v10
	v_addc_co_u32_e32 v11, vcc, v4, v11, vcc
	global_load_dword v1, v[10:11], off
	s_ashr_i32 s5, s4, 31
	s_lshl_b64 s[0:1], s[4:5], 3
	s_add_u32 s0, s2, s0
	s_addc_u32 s1, s3, s1
	s_load_dwordx2 s[14:15], s[0:1], 0x0
	s_waitcnt vmcnt(1)
	v_mov_b32_e32 v9, v8
	v_max_f32_e32 v8, v6, v6
	v_mov_b32_e32 v10, v7
	s_add_i32 s11, s11, -1
	s_waitcnt lgkmcnt(0)
	v_max_f32_e64 v7, s14, s14
	v_max_f32_e32 v7, v8, v7
	v_sub_f32_e32 v11, s14, v7
	v_sub_f32_e32 v8, v6, v7
	v_mul_f32_e32 v12, 0x3fb8aa3b, v11
	v_mov_b32_e32 v6, v7
	v_mul_f32_e32 v7, 0x3fb8aa3b, v8
	v_fma_f32 v15, v11, s6, -v12
	v_rndne_f32_e32 v16, v12
	v_fma_f32 v13, v8, s6, -v7
	v_rndne_f32_e32 v14, v7
	v_fmac_f32_e32 v15, 0x32a5705f, v11
	v_sub_f32_e32 v12, v12, v16
	v_fmac_f32_e32 v13, 0x32a5705f, v8
	v_sub_f32_e32 v7, v7, v14
	v_add_f32_e32 v12, v12, v15
	v_cvt_i32_f32_e32 v16, v16
	v_add_f32_e32 v7, v7, v13
	v_exp_f32_e32 v12, v12
	v_cvt_i32_f32_e32 v14, v14
	v_exp_f32_e32 v7, v7
	v_cmp_ngt_f32_e32 vcc, s7, v11
	v_ldexp_f32 v12, v12, v16
	v_cmp_ngt_f32_e64 s[0:1], s7, v8
	v_ldexp_f32 v7, v7, v14
	v_cndmask_b32_e32 v12, 0, v12, vcc
	v_cmp_nlt_f32_e32 vcc, s8, v11
	v_cndmask_b32_e64 v7, 0, v7, s[0:1]
	v_cmp_nlt_f32_e64 s[0:1], s8, v8
	v_cndmask_b32_e32 v12, v5, v12, vcc
	v_cmp_le_f32_e32 vcc, s12, v11
	v_cndmask_b32_e64 v7, v5, v7, s[0:1]
	v_cmp_le_f32_e64 s[0:1], s12, v8
	v_cndmask_b32_e32 v8, 0, v12, vcc
	s_add_i32 s4, s4, -16
	v_cndmask_b32_e64 v11, 0, v7, s[0:1]
	v_mul_f32_e32 v7, s15, v8
	v_add_u32_e32 v0, 0xffffe000, v0
	s_cmp_le_i32 s11, s9
	v_fmac_f32_e32 v7, v10, v11
	s_waitcnt vmcnt(0)
	v_mul_f32_e32 v8, v1, v8
	v_fmac_f32_e32 v8, v9, v11
	s_cbranch_scc0 .LBB7_3
	s_branch .LBB7_5
.LBB7_4:
	s_waitcnt lgkmcnt(0)
	v_mov_b32_e32 v7, s5
.LBB7_5:
	s_waitcnt vmcnt(0)
	v_div_scale_f32 v0, s[0:1], v7, v7, v8
	v_rcp_f32_e32 v1, v0
	v_div_scale_f32 v4, vcc, v8, v7, v8
	v_fma_f32 v5, -v0, v1, 1.0
	v_fmac_f32_e32 v1, v5, v1
	v_mul_f32_e32 v5, v4, v1
	v_fma_f32 v6, -v0, v5, v4
	v_fmac_f32_e32 v5, v6, v1
	v_fma_f32 v0, -v0, v5, v4
	v_div_fmas_f32 v0, v0, v1, v5
	v_div_fixup_f32 v0, v0, v7, v8
	global_store_dword v[2:3], v0, off
.LBB7_6:
	s_endpgm
	.section	.rodata,"a",@progbits
	.p2align	6, 0x0
	.amdhsa_kernel _ZL33flash_attn_stream_k_fixup_uniformILi512ELi2ELi8EEvPfPK15HIP_vector_typeIfLj2EEiiiiiiS1_IjLj3EES5_S5_
		.amdhsa_group_segment_fixed_size 0
		.amdhsa_private_segment_fixed_size 0
		.amdhsa_kernarg_size 76
		.amdhsa_user_sgpr_count 6
		.amdhsa_user_sgpr_private_segment_buffer 1
		.amdhsa_user_sgpr_dispatch_ptr 0
		.amdhsa_user_sgpr_queue_ptr 0
		.amdhsa_user_sgpr_kernarg_segment_ptr 1
		.amdhsa_user_sgpr_dispatch_id 0
		.amdhsa_user_sgpr_flat_scratch_init 0
		.amdhsa_user_sgpr_kernarg_preload_length 0
		.amdhsa_user_sgpr_kernarg_preload_offset 0
		.amdhsa_user_sgpr_private_segment_size 0
		.amdhsa_uses_dynamic_stack 0
		.amdhsa_system_sgpr_private_segment_wavefront_offset 0
		.amdhsa_system_sgpr_workgroup_id_x 1
		.amdhsa_system_sgpr_workgroup_id_y 1
		.amdhsa_system_sgpr_workgroup_id_z 1
		.amdhsa_system_sgpr_workgroup_info 0
		.amdhsa_system_vgpr_workitem_id 0
		.amdhsa_next_free_vgpr 17
		.amdhsa_next_free_sgpr 20
		.amdhsa_accum_offset 20
		.amdhsa_reserve_vcc 1
		.amdhsa_reserve_flat_scratch 0
		.amdhsa_float_round_mode_32 0
		.amdhsa_float_round_mode_16_64 0
		.amdhsa_float_denorm_mode_32 3
		.amdhsa_float_denorm_mode_16_64 3
		.amdhsa_dx10_clamp 1
		.amdhsa_ieee_mode 1
		.amdhsa_fp16_overflow 0
		.amdhsa_tg_split 0
		.amdhsa_exception_fp_ieee_invalid_op 0
		.amdhsa_exception_fp_denorm_src 0
		.amdhsa_exception_fp_ieee_div_zero 0
		.amdhsa_exception_fp_ieee_overflow 0
		.amdhsa_exception_fp_ieee_underflow 0
		.amdhsa_exception_fp_ieee_inexact 0
		.amdhsa_exception_int_div_zero 0
	.end_amdhsa_kernel
	.section	.text._ZL33flash_attn_stream_k_fixup_uniformILi512ELi2ELi8EEvPfPK15HIP_vector_typeIfLj2EEiiiiiiS1_IjLj3EES5_S5_,"axG",@progbits,_ZL33flash_attn_stream_k_fixup_uniformILi512ELi2ELi8EEvPfPK15HIP_vector_typeIfLj2EEiiiiiiS1_IjLj3EES5_S5_,comdat
.Lfunc_end7:
	.size	_ZL33flash_attn_stream_k_fixup_uniformILi512ELi2ELi8EEvPfPK15HIP_vector_typeIfLj2EEiiiiiiS1_IjLj3EES5_S5_, .Lfunc_end7-_ZL33flash_attn_stream_k_fixup_uniformILi512ELi2ELi8EEvPfPK15HIP_vector_typeIfLj2EEiiiiiiS1_IjLj3EES5_S5_
                                        ; -- End function
	.section	.AMDGPU.csdata,"",@progbits
; Kernel info:
; codeLenInByte = 856
; NumSgprs: 24
; NumVgprs: 17
; NumAgprs: 0
; TotalNumVgprs: 17
; ScratchSize: 0
; MemoryBound: 0
; FloatMode: 240
; IeeeMode: 1
; LDSByteSize: 0 bytes/workgroup (compile time only)
; SGPRBlocks: 2
; VGPRBlocks: 2
; NumSGPRsForWavesPerEU: 24
; NumVGPRsForWavesPerEU: 17
; AccumOffset: 20
; Occupancy: 8
; WaveLimiterHint : 0
; COMPUTE_PGM_RSRC2:SCRATCH_EN: 0
; COMPUTE_PGM_RSRC2:USER_SGPR: 6
; COMPUTE_PGM_RSRC2:TRAP_HANDLER: 0
; COMPUTE_PGM_RSRC2:TGID_X_EN: 1
; COMPUTE_PGM_RSRC2:TGID_Y_EN: 1
; COMPUTE_PGM_RSRC2:TGID_Z_EN: 1
; COMPUTE_PGM_RSRC2:TIDIG_COMP_CNT: 0
; COMPUTE_PGM_RSRC3_GFX90A:ACCUM_OFFSET: 4
; COMPUTE_PGM_RSRC3_GFX90A:TG_SPLIT: 0
	.section	.text._ZL33flash_attn_stream_k_fixup_generalILi512ELi2ELi8EEvPfPK15HIP_vector_typeIfLj2EEiiiiS1_IjLj3EES5_S5_S5_,"axG",@progbits,_ZL33flash_attn_stream_k_fixup_generalILi512ELi2ELi8EEvPfPK15HIP_vector_typeIfLj2EEiiiiS1_IjLj3EES5_S5_S5_,comdat
	.globl	_ZL33flash_attn_stream_k_fixup_generalILi512ELi2ELi8EEvPfPK15HIP_vector_typeIfLj2EEiiiiS1_IjLj3EES5_S5_S5_ ; -- Begin function _ZL33flash_attn_stream_k_fixup_generalILi512ELi2ELi8EEvPfPK15HIP_vector_typeIfLj2EEiiiiS1_IjLj3EES5_S5_S5_
	.p2align	8
	.type	_ZL33flash_attn_stream_k_fixup_generalILi512ELi2ELi8EEvPfPK15HIP_vector_typeIfLj2EEiiiiS1_IjLj3EES5_S5_S5_,@function
_ZL33flash_attn_stream_k_fixup_generalILi512ELi2ELi8EEvPfPK15HIP_vector_typeIfLj2EEiiiiS1_IjLj3EES5_S5_S5_: ; @_ZL33flash_attn_stream_k_fixup_generalILi512ELi2ELi8EEvPfPK15HIP_vector_typeIfLj2EEiiiiS1_IjLj3EES5_S5_S5_
; %bb.0:
	s_load_dwordx4 s[12:15], s[4:5], 0x10
	s_load_dword s9, s[4:5], 0x50
	s_mov_b32 s2, 0
	s_waitcnt lgkmcnt(0)
	s_mul_hi_i32 s3, s15, s6
	s_cmp_lg_u64 s[2:3], 0
	s_mul_i32 s2, s15, s6
	s_cbranch_scc0 .LBB8_21
; %bb.1:
	v_cvt_f32_u32_e32 v1, s9
	v_cvt_f32_ubyte0_e32 v2, 0
	s_sub_u32 s10, 0, s9
	s_subb_u32 s11, 0, 0
	v_madmk_f32 v1, v2, 0x4f800000, v1
	v_rcp_f32_e32 v1, v1
	v_mul_f32_e32 v1, 0x5f7ffffc, v1
	v_mul_f32_e32 v2, 0x2f800000, v1
	v_trunc_f32_e32 v2, v2
	v_madmk_f32 v1, v2, 0xcf800000, v1
	v_cvt_u32_f32_e32 v2, v2
	v_cvt_u32_f32_e32 v1, v1
	v_readfirstlane_b32 s16, v2
	v_readfirstlane_b32 s17, v1
	s_mul_i32 s18, s10, s16
	s_mul_hi_u32 s20, s10, s17
	s_mul_i32 s19, s11, s17
	s_add_i32 s18, s20, s18
	s_add_i32 s18, s18, s19
	s_mul_i32 s21, s10, s17
	s_mul_hi_u32 s19, s17, s18
	s_mul_i32 s20, s17, s18
	s_mul_hi_u32 s17, s17, s21
	s_add_u32 s17, s17, s20
	s_addc_u32 s19, 0, s19
	s_mul_hi_u32 s22, s16, s21
	s_mul_i32 s21, s16, s21
	s_add_u32 s17, s17, s21
	s_mul_hi_u32 s20, s16, s18
	s_addc_u32 s17, s19, s22
	s_addc_u32 s19, s20, 0
	s_mul_i32 s18, s16, s18
	s_add_u32 s17, s17, s18
	s_addc_u32 s18, 0, s19
	v_add_co_u32_e32 v1, vcc, s17, v1
	s_cmp_lg_u64 vcc, 0
	s_addc_u32 s16, s16, s18
	v_readfirstlane_b32 s18, v1
	s_mul_i32 s17, s10, s16
	s_mul_hi_u32 s19, s10, s18
	s_add_i32 s17, s19, s17
	s_mul_i32 s11, s11, s18
	s_add_i32 s17, s17, s11
	s_mul_i32 s10, s10, s18
	s_mul_hi_u32 s19, s16, s10
	s_mul_i32 s20, s16, s10
	s_mul_i32 s22, s18, s17
	s_mul_hi_u32 s10, s18, s10
	s_mul_hi_u32 s21, s18, s17
	s_add_u32 s10, s10, s22
	s_addc_u32 s18, 0, s21
	s_add_u32 s10, s10, s20
	s_mul_hi_u32 s11, s16, s17
	s_addc_u32 s10, s18, s19
	s_addc_u32 s11, s11, 0
	s_mul_i32 s17, s16, s17
	s_add_u32 s10, s10, s17
	s_addc_u32 s11, 0, s11
	v_add_co_u32_e32 v1, vcc, s10, v1
	s_cmp_lg_u64 vcc, 0
	s_addc_u32 s18, s16, s11
	s_ashr_i32 s10, s3, 31
	s_add_u32 s16, s2, s10
	s_mov_b32 s11, s10
	s_addc_u32 s17, s3, s10
	s_xor_b64 s[16:17], s[16:17], s[10:11]
	v_readfirstlane_b32 s20, v1
	s_mul_i32 s19, s16, s18
	s_mul_hi_u32 s21, s16, s20
	s_mul_hi_u32 s3, s16, s18
	s_add_u32 s19, s21, s19
	s_addc_u32 s3, 0, s3
	s_mul_hi_u32 s22, s17, s20
	s_mul_i32 s20, s17, s20
	s_add_u32 s19, s19, s20
	s_mul_hi_u32 s21, s17, s18
	s_addc_u32 s3, s3, s22
	s_addc_u32 s19, s21, 0
	s_mul_i32 s18, s17, s18
	s_add_u32 s3, s3, s18
	s_addc_u32 s18, 0, s19
	s_add_u32 s19, s3, 1
	s_addc_u32 s20, s18, 0
	s_add_u32 s21, s3, 2
	s_mul_i32 s23, s9, s18
	s_mul_hi_u32 s24, s9, s3
	s_addc_u32 s22, s18, 0
	s_add_i32 s24, s24, s23
	s_mul_i32 s23, s9, s3
	v_mov_b32_e32 v1, s23
	v_sub_co_u32_e32 v1, vcc, s16, v1
	s_cmp_lg_u64 vcc, 0
	s_subb_u32 s16, s17, s24
	v_subrev_co_u32_e32 v2, vcc, s9, v1
	s_cmp_lg_u64 vcc, 0
	s_subb_u32 s17, s16, 0
	v_readfirstlane_b32 s23, v2
	s_cmp_ge_u32 s23, s9
	s_cselect_b32 s23, -1, 0
	s_cmp_eq_u32 s17, 0
	s_cselect_b32 s17, s23, -1
	s_cmp_lg_u32 s17, 0
	s_cselect_b32 s17, s22, s20
	v_readfirstlane_b32 s20, v1
	s_cselect_b32 s19, s21, s19
	s_cmp_ge_u32 s20, s9
	s_cselect_b32 s20, -1, 0
	s_cmp_eq_u32 s16, 0
	s_cselect_b32 s16, s20, -1
	s_cmp_lg_u32 s16, 0
	s_cselect_b32 s17, s17, s18
	s_cselect_b32 s16, s19, s3
	s_xor_b64 s[16:17], s[16:17], s[10:11]
	s_sub_u32 s20, s16, s10
	s_load_dwordx4 s[16:19], s[4:5], 0x44
	s_cbranch_execnz .LBB8_3
.LBB8_2:
	v_cvt_f32_u32_e32 v1, s9
	s_sub_i32 s0, 0, s9
	v_rcp_iflag_f32_e32 v1, v1
	v_mul_f32_e32 v1, 0x4f7ffffe, v1
	v_cvt_u32_f32_e32 v1, v1
	v_readfirstlane_b32 s1, v1
	s_mul_i32 s0, s0, s1
	s_mul_hi_u32 s0, s1, s0
	s_add_i32 s1, s1, s0
	s_mul_hi_u32 s0, s2, s1
	s_mul_i32 s3, s0, s9
	s_sub_i32 s2, s2, s3
	s_add_i32 s1, s0, 1
	s_sub_i32 s3, s2, s9
	s_cmp_ge_u32 s2, s9
	s_cselect_b32 s0, s1, s0
	s_cselect_b32 s2, s3, s2
	s_add_i32 s1, s0, 1
	s_cmp_ge_u32 s2, s9
	s_cselect_b32 s20, s1, s0
.LBB8_3:
	s_add_i32 s0, s6, 1
	s_mul_hi_i32 s3, s15, s0
	s_mov_b32 s2, 0
	s_cmp_lg_u64 s[2:3], 0
	s_mul_i32 s2, s15, s0
	s_cbranch_scc0 .LBB8_22
; %bb.4:
	v_cvt_f32_u32_e32 v1, s9
	v_cvt_f32_ubyte0_e32 v2, 0
	s_sub_u32 s10, 0, s9
	s_subb_u32 s11, 0, 0
	v_madmk_f32 v1, v2, 0x4f800000, v1
	v_rcp_f32_e32 v1, v1
	v_mul_f32_e32 v1, 0x5f7ffffc, v1
	v_mul_f32_e32 v2, 0x2f800000, v1
	v_trunc_f32_e32 v2, v2
	v_madmk_f32 v1, v2, 0xcf800000, v1
	v_cvt_u32_f32_e32 v2, v2
	v_cvt_u32_f32_e32 v1, v1
	s_waitcnt lgkmcnt(0)
	v_readfirstlane_b32 s19, v2
	v_readfirstlane_b32 s21, v1
	s_mul_i32 s22, s10, s19
	s_mul_hi_u32 s24, s10, s21
	s_mul_i32 s23, s11, s21
	s_add_i32 s22, s24, s22
	s_add_i32 s22, s22, s23
	s_mul_i32 s25, s10, s21
	s_mul_hi_u32 s23, s21, s22
	s_mul_i32 s24, s21, s22
	s_mul_hi_u32 s21, s21, s25
	s_add_u32 s21, s21, s24
	s_addc_u32 s23, 0, s23
	s_mul_hi_u32 s26, s19, s25
	s_mul_i32 s25, s19, s25
	s_add_u32 s21, s21, s25
	s_mul_hi_u32 s24, s19, s22
	s_addc_u32 s21, s23, s26
	s_addc_u32 s23, s24, 0
	s_mul_i32 s22, s19, s22
	s_add_u32 s21, s21, s22
	s_addc_u32 s22, 0, s23
	v_add_co_u32_e32 v1, vcc, s21, v1
	s_cmp_lg_u64 vcc, 0
	s_addc_u32 s19, s19, s22
	v_readfirstlane_b32 s22, v1
	s_mul_i32 s21, s10, s19
	s_mul_hi_u32 s23, s10, s22
	s_add_i32 s21, s23, s21
	s_mul_i32 s11, s11, s22
	s_add_i32 s21, s21, s11
	s_mul_i32 s10, s10, s22
	s_mul_hi_u32 s23, s19, s10
	s_mul_i32 s24, s19, s10
	s_mul_i32 s26, s22, s21
	s_mul_hi_u32 s10, s22, s10
	s_mul_hi_u32 s25, s22, s21
	s_add_u32 s10, s10, s26
	s_addc_u32 s22, 0, s25
	s_add_u32 s10, s10, s24
	s_mul_hi_u32 s11, s19, s21
	s_addc_u32 s10, s22, s23
	s_addc_u32 s11, s11, 0
	s_mul_i32 s21, s19, s21
	s_add_u32 s10, s10, s21
	s_addc_u32 s11, 0, s11
	v_add_co_u32_e32 v1, vcc, s10, v1
	s_cmp_lg_u64 vcc, 0
	s_addc_u32 s19, s19, s11
	s_ashr_i32 s10, s3, 31
	s_add_u32 s22, s2, s10
	s_mov_b32 s11, s10
	s_addc_u32 s23, s3, s10
	s_xor_b64 s[22:23], s[22:23], s[10:11]
	v_readfirstlane_b32 s21, v1
	s_mul_i32 s11, s22, s19
	s_mul_hi_u32 s24, s22, s21
	s_mul_hi_u32 s3, s22, s19
	s_add_u32 s11, s24, s11
	s_addc_u32 s3, 0, s3
	s_mul_hi_u32 s25, s23, s21
	s_mul_i32 s21, s23, s21
	s_add_u32 s11, s11, s21
	s_mul_hi_u32 s24, s23, s19
	s_addc_u32 s3, s3, s25
	s_addc_u32 s11, s24, 0
	s_mul_i32 s19, s23, s19
	s_add_u32 s3, s3, s19
	s_addc_u32 s11, 0, s11
	s_mul_i32 s11, s9, s11
	s_mul_hi_u32 s24, s9, s3
	s_add_i32 s24, s24, s11
	s_mul_i32 s11, s9, s3
	v_mov_b32_e32 v1, s11
	s_add_u32 s19, s3, 1
	s_add_u32 s21, s3, 2
	v_sub_co_u32_e32 v1, vcc, s22, v1
	s_cmp_lg_u64 vcc, 0
	s_subb_u32 s11, s23, s24
	v_subrev_co_u32_e32 v2, vcc, s9, v1
	s_cmp_lg_u64 vcc, 0
	s_subb_u32 s22, s11, 0
	v_cmp_le_u32_e32 vcc, s9, v2
	s_cmp_eq_u32 s22, 0
	v_cndmask_b32_e64 v2, 0, -1, vcc
	s_cselect_b64 vcc, -1, 0
	v_cndmask_b32_e32 v2, -1, v2, vcc
	v_mov_b32_e32 v3, s19
	v_mov_b32_e32 v4, s21
	v_cmp_ne_u32_e32 vcc, 0, v2
	v_cndmask_b32_e32 v2, v3, v4, vcc
	v_cmp_le_u32_e32 vcc, s9, v1
	s_cmp_eq_u32 s11, 0
	v_cndmask_b32_e64 v1, 0, -1, vcc
	s_cselect_b64 vcc, -1, 0
	v_cndmask_b32_e32 v1, -1, v1, vcc
	v_mov_b32_e32 v3, s3
	v_cmp_ne_u32_e32 vcc, 0, v1
	v_cndmask_b32_e32 v1, v3, v2, vcc
	v_xor_b32_e32 v1, s10, v1
	v_subrev_co_u32_e32 v2, vcc, s10, v1
	s_cbranch_execnz .LBB8_6
.LBB8_5:
	v_cvt_f32_u32_e32 v1, s9
	s_sub_i32 s0, 0, s9
	s_mov_b32 s1, 0
	v_rcp_iflag_f32_e32 v1, v1
	v_mul_f32_e32 v1, 0x4f7ffffe, v1
	v_cvt_u32_f32_e32 v1, v1
	v_readfirstlane_b32 s3, v1
	s_mul_i32 s0, s0, s3
	s_mul_hi_u32 s0, s3, s0
	s_add_i32 s3, s3, s0
	s_mul_hi_u32 s0, s2, s3
	s_mul_i32 s10, s0, s9
	s_sub_i32 s2, s2, s10
	s_add_i32 s3, s0, 1
	s_sub_i32 s10, s2, s9
	s_cmp_ge_u32 s2, s9
	s_cselect_b32 s0, s3, s0
	s_cselect_b32 s2, s10, s2
	s_add_i32 s3, s0, 1
	s_cmp_ge_u32 s2, s9
	s_cselect_b32 s0, s3, s0
	v_pk_mov_b32 v[2:3], s[0:1], s[0:1] op_sel:[0,1]
.LBB8_6:
	s_waitcnt lgkmcnt(0)
	s_mul_hi_u32 s0, s20, s16
	s_add_i32 s0, s0, s20
	v_mul_hi_u32 v1, v2, s16
	s_lshr_b32 s19, s0, s17
	v_add_u32_e32 v1, v1, v2
	s_mul_i32 s0, s19, s18
	v_lshrrev_b32_e32 v1, s17, v1
	s_cmp_eq_u32 s0, s20
	v_cmp_eq_u32_e64 s[0:1], s19, v1
	v_mul_lo_u32 v1, v1, s18
	v_cmp_eq_u32_e32 vcc, s20, v2
	s_cselect_b64 s[10:11], -1, 0
	v_cmp_ne_u32_e64 s[2:3], v1, v2
	s_and_b64 s[0:1], s[0:1], s[2:3]
	s_or_b64 s[2:3], vcc, s[10:11]
	s_or_b64 s[0:1], s[2:3], s[0:1]
	s_and_b64 vcc, exec, s[0:1]
	s_cbranch_vccnz .LBB8_24
; %bb.7:
	s_load_dwordx8 s[24:31], s[4:5], 0x20
	s_load_dword s0, s[4:5], 0x40
	s_mov_b32 s10, 0
	s_waitcnt lgkmcnt(0)
	s_mul_hi_u32 s1, s20, s24
	s_add_i32 s1, s1, s20
	s_lshr_b32 s11, s1, s25
	s_mul_i32 s1, s11, s26
	s_sub_i32 s1, s20, s1
	s_mul_hi_u32 s2, s1, s27
	s_add_i32 s2, s1, s2
	s_lshr_b32 s24, s2, s28
	s_mul_i32 s2, s24, s29
	s_sub_i32 s1, s1, s2
	;; [unrolled: 5-line block ×3, first 2 shown]
	s_mul_hi_u32 s1, s0, s16
	s_add_i32 s0, s0, s1
	s_lshr_b32 s26, s0, s17
	s_lshl_b32 s0, s26, 1
	s_lshl_b32 s25, s2, 3
	s_add_i32 s0, s0, s7
	s_cmp_lt_i32 s0, s12
	s_cselect_b64 s[0:1], -1, 0
	s_add_i32 s2, s25, s8
	s_cmp_lt_i32 s2, s14
	s_cselect_b64 s[2:3], -1, 0
	s_and_b64 s[0:1], s[0:1], s[2:3]
	s_andn2_b64 vcc, exec, s[0:1]
	s_cbranch_vccnz .LBB8_24
; %bb.8:
	s_load_dwordx4 s[0:3], s[4:5], 0x0
	s_lshl_b32 s21, s7, 3
	s_lshl_b32 s4, s9, 6
	s_mov_b32 s5, s10
	s_add_i32 s21, s21, s8
	s_lshl_b64 s[4:5], s[4:5], 2
	s_waitcnt lgkmcnt(0)
	s_add_u32 s22, s2, s4
	s_mul_i32 s4, s11, s12
	s_addc_u32 s23, s3, s5
	s_add_i32 s4, s4, s7
	s_mul_i32 s4, s4, s13
	s_mul_i32 s24, s24, s14
	s_add_i32 s4, s4, s8
	s_add_i32 s4, s4, s24
	s_mul_i32 s5, s13, s26
	s_add_i32 s4, s4, s25
	s_lshl_b32 s5, s5, 10
	s_lshl_b32 s4, s4, 9
	s_add_i32 s5, s5, s4
	v_or_b32_e32 v2, s5, v0
	v_ashrrev_i32_e32 v3, 31, v2
	v_lshlrev_b64 v[2:3], 2, v[2:3]
	v_mov_b32_e32 v1, s1
	v_add_co_u32_e32 v2, vcc, s0, v2
	v_addc_co_u32_e32 v3, vcc, v1, v3, vcc
	global_load_dword v5, v[2:3], off
	v_lshl_or_b32 v4, s21, 9, v0
	v_cvt_f32_u32_e32 v0, s9
	v_cvt_f32_ubyte0_e32 v1, 0
	s_lshl_b32 s0, s6, 4
	s_add_i32 s0, s21, s0
	v_mac_f32_e32 v0, 0x4f800000, v1
	v_rcp_f32_e32 v0, v0
	v_cvt_f32_u32_e32 v1, s9
	s_ashr_i32 s1, s0, 31
	s_lshl_b64 s[0:1], s[0:1], 3
	v_mul_f32_e32 v0, 0x5f7ffffc, v0
	v_rcp_iflag_f32_e32 v1, v1
	s_add_u32 s0, s2, s0
	v_mul_f32_e32 v9, 0x2f800000, v0
	s_addc_u32 s1, s3, s1
	v_trunc_f32_e32 v10, v9
	s_load_dwordx2 s[0:1], s[0:1], 0x0
	v_mac_f32_e32 v0, 0xcf800000, v10
	v_cvt_u32_f32_e32 v9, v0
	v_mul_f32_e32 v0, 0x4f7ffffe, v1
	v_cvt_u32_f32_e32 v10, v10
	v_cvt_u32_f32_e32 v11, v0
	s_add_i32 s8, s6, -1
	s_waitcnt lgkmcnt(0)
	v_mov_b32_e32 v6, s1
	v_mov_b32_e32 v7, s0
	;; [unrolled: 1-line block ×3, first 2 shown]
	s_mov_b32 s6, 0x3fb8aa3b
	s_mov_b32 s7, 0xc2ce8ed0
	;; [unrolled: 1-line block ×4, first 2 shown]
	v_mov_b32_e32 v12, 0x7f800000
	s_mul_hi_i32 s11, s8, s15
	s_cmp_lg_u64 s[10:11], 0
	s_mul_i32 s4, s8, s15
	s_cbranch_scc0 .LBB8_15
.LBB8_9:
	s_sub_u32 s0, 0, s9
	v_readfirstlane_b32 s5, v9
	v_readfirstlane_b32 s24, v10
	s_subb_u32 s1, 0, 0
	s_mul_hi_u32 s20, s0, s5
	s_mul_i32 s25, s0, s24
	s_mul_i32 s14, s1, s5
	s_add_i32 s20, s20, s25
	s_add_i32 s20, s20, s14
	s_mul_i32 s26, s0, s5
	s_mul_hi_u32 s14, s5, s20
	s_mul_i32 s25, s5, s20
	s_mul_hi_u32 s5, s5, s26
	s_add_u32 s5, s5, s25
	s_addc_u32 s14, 0, s14
	s_mul_hi_u32 s27, s24, s26
	s_mul_i32 s26, s24, s26
	s_add_u32 s5, s5, s26
	s_mul_hi_u32 s25, s24, s20
	s_addc_u32 s5, s14, s27
	s_addc_u32 s14, s25, 0
	s_mul_i32 s20, s24, s20
	s_add_u32 s5, s5, s20
	s_addc_u32 s14, 0, s14
	v_add_co_u32_e32 v0, vcc, s5, v9
	s_cmp_lg_u64 vcc, 0
	s_addc_u32 s5, s24, s14
	v_readfirstlane_b32 s20, v0
	s_mul_i32 s14, s0, s5
	s_mul_hi_u32 s24, s0, s20
	s_add_i32 s14, s24, s14
	s_mul_i32 s1, s1, s20
	s_add_i32 s14, s14, s1
	s_mul_i32 s0, s0, s20
	s_mul_hi_u32 s24, s5, s0
	s_mul_i32 s25, s5, s0
	s_mul_i32 s27, s20, s14
	s_mul_hi_u32 s0, s20, s0
	s_mul_hi_u32 s26, s20, s14
	s_add_u32 s0, s0, s27
	s_addc_u32 s20, 0, s26
	s_add_u32 s0, s0, s25
	s_mul_hi_u32 s1, s5, s14
	s_addc_u32 s0, s20, s24
	s_addc_u32 s1, s1, 0
	s_mul_i32 s14, s5, s14
	s_add_u32 s0, s0, s14
	s_addc_u32 s1, 0, s1
	v_add_co_u32_e32 v0, vcc, s0, v0
	s_cmp_lg_u64 vcc, 0
	s_addc_u32 s5, s5, s1
	s_ashr_i32 s0, s11, 31
	s_add_u32 s24, s4, s0
	s_mov_b32 s1, s0
	s_addc_u32 s25, s11, s0
	s_xor_b64 s[24:25], s[24:25], s[0:1]
	v_readfirstlane_b32 s14, v0
	s_mul_i32 s11, s24, s5
	s_mul_hi_u32 s20, s24, s14
	s_mul_hi_u32 s1, s24, s5
	s_add_u32 s11, s20, s11
	s_addc_u32 s1, 0, s1
	s_mul_hi_u32 s26, s25, s14
	s_mul_i32 s14, s25, s14
	s_add_u32 s11, s11, s14
	s_mul_hi_u32 s20, s25, s5
	s_addc_u32 s1, s1, s26
	s_addc_u32 s11, s20, 0
	s_mul_i32 s5, s25, s5
	s_add_u32 s1, s1, s5
	s_addc_u32 s5, 0, s11
	s_mul_i32 s5, s9, s5
	s_mul_hi_u32 s20, s9, s1
	s_add_i32 s20, s20, s5
	s_mul_i32 s5, s9, s1
	v_mov_b32_e32 v0, s5
	s_add_u32 s11, s1, 1
	s_add_u32 s14, s1, 2
	v_sub_co_u32_e32 v0, vcc, s24, v0
	s_cmp_lg_u64 vcc, 0
	s_subb_u32 s5, s25, s20
	v_subrev_co_u32_e32 v1, vcc, s9, v0
	s_cmp_lg_u64 vcc, 0
	s_subb_u32 s20, s5, 0
	v_cmp_le_u32_e32 vcc, s9, v1
	s_cmp_eq_u32 s20, 0
	v_cndmask_b32_e64 v1, 0, -1, vcc
	s_cselect_b64 vcc, -1, 0
	v_cndmask_b32_e32 v1, -1, v1, vcc
	v_mov_b32_e32 v13, s11
	v_mov_b32_e32 v14, s14
	v_cmp_ne_u32_e32 vcc, 0, v1
	v_cndmask_b32_e32 v1, v13, v14, vcc
	v_cmp_le_u32_e32 vcc, s9, v0
	s_cmp_eq_u32 s5, 0
	v_cndmask_b32_e64 v0, 0, -1, vcc
	s_cselect_b64 vcc, -1, 0
	v_cndmask_b32_e32 v0, -1, v0, vcc
	v_mov_b32_e32 v13, s1
	v_cmp_ne_u32_e32 vcc, 0, v0
	v_cndmask_b32_e32 v0, v13, v1, vcc
	v_xor_b32_e32 v0, s0, v0
	v_subrev_co_u32_e32 v0, vcc, s0, v0
	s_cbranch_execnz .LBB8_11
.LBB8_10:
	s_sub_i32 s0, 0, s9
	v_mul_lo_u32 v0, s0, v11
	v_mul_hi_u32 v0, v11, v0
	v_add_u32_e32 v0, v11, v0
	v_mul_hi_u32 v0, s4, v0
	v_mul_lo_u32 v13, v0, s9
	v_sub_u32_e32 v13, s4, v13
	v_add_u32_e32 v1, 1, v0
	v_subrev_u32_e32 v14, s9, v13
	v_cmp_le_u32_e32 vcc, s9, v13
	v_cndmask_b32_e32 v13, v13, v14, vcc
	v_cndmask_b32_e32 v0, v0, v1, vcc
	v_add_u32_e32 v1, 1, v0
	v_cmp_le_u32_e32 vcc, s9, v13
	v_cndmask_b32_e32 v0, v0, v1, vcc
.LBB8_11:
	v_cmp_ne_u32_e32 vcc, v8, v0
	s_cbranch_vccz .LBB8_14
; %bb.12:
	s_add_i32 s0, s8, s9
	s_lshl_b32 s0, s0, 4
	v_mul_hi_u32 v1, v0, s16
	s_add_i32 s0, s0, s21
	s_mov_b32 s1, s10
	v_add_u32_e32 v1, v1, v0
	s_lshl_b64 s[0:1], s[0:1], 3
	v_lshrrev_b32_e32 v1, s17, v1
	s_add_u32 s4, s2, s0
	v_mul_lo_u32 v13, v1, s18
	s_addc_u32 s5, s3, s1
	v_cmp_eq_u32_e32 vcc, v13, v0
	v_cmp_gt_u32_e64 s[0:1], s19, v1
	s_or_b64 s[0:1], s[0:1], vcc
	s_and_b64 vcc, exec, s[0:1]
	s_cbranch_vccnz .LBB8_16
; %bb.13:
	s_add_i32 s11, s8, -1
	s_mov_b64 s[0:1], 0
	s_branch .LBB8_17
.LBB8_14:
                                        ; implicit-def: $sgpr0_sgpr1
                                        ; implicit-def: $vgpr14
                                        ; implicit-def: $vgpr1
                                        ; implicit-def: $vgpr13
                                        ; implicit-def: $sgpr11
                                        ; implicit-def: $vgpr0
	s_branch .LBB8_18
.LBB8_15:
                                        ; implicit-def: $vgpr0_vgpr1
	s_branch .LBB8_10
.LBB8_16:
	s_mov_b64 s[0:1], -1
	s_mov_b32 s11, s8
	v_mov_b32_e32 v0, v8
.LBB8_17:
	v_lshl_add_u32 v14, s8, 13, v4
	v_ashrrev_i32_e32 v15, 31, v14
	v_lshlrev_b64 v[14:15], 2, v[14:15]
	v_mov_b32_e32 v1, s23
	v_add_co_u32_e32 v14, vcc, s22, v14
	v_addc_co_u32_e32 v15, vcc, v1, v15, vcc
	global_load_dword v14, v[14:15], off
	s_load_dwordx2 s[4:5], s[4:5], 0x0
	v_max_f32_e32 v1, v7, v7
	s_waitcnt lgkmcnt(0)
	v_max_f32_e64 v13, s4, s4
	v_max_f32_e32 v1, v1, v13
	v_sub_f32_e32 v13, v7, v1
	v_sub_f32_e32 v15, s4, v1
	v_mul_f32_e32 v16, 0x3fb8aa3b, v13
	v_mul_f32_e32 v17, 0x3fb8aa3b, v15
	v_fma_f32 v18, v13, s6, -v16
	v_rndne_f32_e32 v19, v16
	v_fma_f32 v20, v15, s6, -v17
	v_rndne_f32_e32 v21, v17
	v_fmac_f32_e32 v18, 0x32a5705f, v13
	v_sub_f32_e32 v16, v16, v19
	v_fmac_f32_e32 v20, 0x32a5705f, v15
	v_sub_f32_e32 v17, v17, v21
	v_add_f32_e32 v16, v16, v18
	v_cvt_i32_f32_e32 v19, v19
	v_add_f32_e32 v17, v17, v20
	v_exp_f32_e32 v16, v16
	v_cvt_i32_f32_e32 v21, v21
	v_exp_f32_e32 v17, v17
	v_cmp_ngt_f32_e32 vcc, s7, v13
	v_ldexp_f32 v16, v16, v19
	v_cndmask_b32_e32 v16, 0, v16, vcc
	v_ldexp_f32 v17, v17, v21
	v_cmp_ngt_f32_e32 vcc, s7, v15
	v_cndmask_b32_e32 v17, 0, v17, vcc
	v_cmp_nlt_f32_e32 vcc, s12, v13
	v_cndmask_b32_e32 v16, v12, v16, vcc
	v_cmp_nlt_f32_e32 vcc, s12, v15
	v_cndmask_b32_e32 v17, v12, v17, vcc
	v_cmp_le_f32_e32 vcc, s13, v13
	v_cndmask_b32_e32 v16, 0, v16, vcc
	v_cmp_le_f32_e32 vcc, s13, v15
	v_cndmask_b32_e32 v15, 0, v17, vcc
	v_mul_f32_e32 v13, s5, v15
	v_fmac_f32_e32 v13, v6, v16
	s_waitcnt vmcnt(0)
	v_mul_f32_e32 v14, v14, v15
	v_fmac_f32_e32 v14, v5, v16
	s_cbranch_execnz .LBB8_19
.LBB8_18:
	s_add_i32 s11, s8, -1
	s_mov_b64 s[0:1], 0
	v_mov_b32_e32 v0, v8
	v_mov_b32_e32 v13, v6
	;; [unrolled: 1-line block ×3, first 2 shown]
	s_waitcnt vmcnt(0)
	v_mov_b32_e32 v14, v5
.LBB8_19:
	s_andn2_b64 vcc, exec, s[0:1]
	s_cbranch_vccz .LBB8_23
; %bb.20:
	v_mov_b32_e32 v8, v0
	s_mov_b32 s8, s11
	v_mov_b32_e32 v6, v13
	v_mov_b32_e32 v7, v1
	s_waitcnt vmcnt(0)
	v_mov_b32_e32 v5, v14
	s_mul_hi_i32 s11, s8, s15
	s_cmp_lg_u64 s[10:11], 0
	s_mul_i32 s4, s8, s15
	s_cbranch_scc1 .LBB8_9
	s_branch .LBB8_15
.LBB8_21:
                                        ; implicit-def: $sgpr20_sgpr21
	s_load_dwordx4 s[16:19], s[4:5], 0x44
	s_branch .LBB8_2
.LBB8_22:
                                        ; implicit-def: $vgpr2_vgpr3
	s_branch .LBB8_5
.LBB8_23:
	v_div_scale_f32 v0, s[0:1], v13, v13, v14
	v_rcp_f32_e32 v1, v0
	v_div_scale_f32 v4, vcc, v14, v13, v14
	s_waitcnt vmcnt(0)
	v_fma_f32 v5, -v0, v1, 1.0
	v_fmac_f32_e32 v1, v5, v1
	v_mul_f32_e32 v5, v4, v1
	v_fma_f32 v6, -v0, v5, v4
	v_fmac_f32_e32 v5, v6, v1
	v_fma_f32 v0, -v0, v5, v4
	v_div_fmas_f32 v0, v0, v1, v5
	v_div_fixup_f32 v0, v0, v13, v14
	global_store_dword v[2:3], v0, off
.LBB8_24:
	s_endpgm
	.section	.rodata,"a",@progbits
	.p2align	6, 0x0
	.amdhsa_kernel _ZL33flash_attn_stream_k_fixup_generalILi512ELi2ELi8EEvPfPK15HIP_vector_typeIfLj2EEiiiiS1_IjLj3EES5_S5_S5_
		.amdhsa_group_segment_fixed_size 0
		.amdhsa_private_segment_fixed_size 0
		.amdhsa_kernarg_size 336
		.amdhsa_user_sgpr_count 6
		.amdhsa_user_sgpr_private_segment_buffer 1
		.amdhsa_user_sgpr_dispatch_ptr 0
		.amdhsa_user_sgpr_queue_ptr 0
		.amdhsa_user_sgpr_kernarg_segment_ptr 1
		.amdhsa_user_sgpr_dispatch_id 0
		.amdhsa_user_sgpr_flat_scratch_init 0
		.amdhsa_user_sgpr_kernarg_preload_length 0
		.amdhsa_user_sgpr_kernarg_preload_offset 0
		.amdhsa_user_sgpr_private_segment_size 0
		.amdhsa_uses_dynamic_stack 0
		.amdhsa_system_sgpr_private_segment_wavefront_offset 0
		.amdhsa_system_sgpr_workgroup_id_x 1
		.amdhsa_system_sgpr_workgroup_id_y 1
		.amdhsa_system_sgpr_workgroup_id_z 1
		.amdhsa_system_sgpr_workgroup_info 0
		.amdhsa_system_vgpr_workitem_id 0
		.amdhsa_next_free_vgpr 22
		.amdhsa_next_free_sgpr 32
		.amdhsa_accum_offset 24
		.amdhsa_reserve_vcc 1
		.amdhsa_reserve_flat_scratch 0
		.amdhsa_float_round_mode_32 0
		.amdhsa_float_round_mode_16_64 0
		.amdhsa_float_denorm_mode_32 3
		.amdhsa_float_denorm_mode_16_64 3
		.amdhsa_dx10_clamp 1
		.amdhsa_ieee_mode 1
		.amdhsa_fp16_overflow 0
		.amdhsa_tg_split 0
		.amdhsa_exception_fp_ieee_invalid_op 0
		.amdhsa_exception_fp_denorm_src 0
		.amdhsa_exception_fp_ieee_div_zero 0
		.amdhsa_exception_fp_ieee_overflow 0
		.amdhsa_exception_fp_ieee_underflow 0
		.amdhsa_exception_fp_ieee_inexact 0
		.amdhsa_exception_int_div_zero 0
	.end_amdhsa_kernel
	.section	.text._ZL33flash_attn_stream_k_fixup_generalILi512ELi2ELi8EEvPfPK15HIP_vector_typeIfLj2EEiiiiS1_IjLj3EES5_S5_S5_,"axG",@progbits,_ZL33flash_attn_stream_k_fixup_generalILi512ELi2ELi8EEvPfPK15HIP_vector_typeIfLj2EEiiiiS1_IjLj3EES5_S5_S5_,comdat
.Lfunc_end8:
	.size	_ZL33flash_attn_stream_k_fixup_generalILi512ELi2ELi8EEvPfPK15HIP_vector_typeIfLj2EEiiiiS1_IjLj3EES5_S5_S5_, .Lfunc_end8-_ZL33flash_attn_stream_k_fixup_generalILi512ELi2ELi8EEvPfPK15HIP_vector_typeIfLj2EEiiiiS1_IjLj3EES5_S5_S5_
                                        ; -- End function
	.section	.AMDGPU.csdata,"",@progbits
; Kernel info:
; codeLenInByte = 2824
; NumSgprs: 36
; NumVgprs: 22
; NumAgprs: 0
; TotalNumVgprs: 22
; ScratchSize: 0
; MemoryBound: 0
; FloatMode: 240
; IeeeMode: 1
; LDSByteSize: 0 bytes/workgroup (compile time only)
; SGPRBlocks: 4
; VGPRBlocks: 2
; NumSGPRsForWavesPerEU: 36
; NumVGPRsForWavesPerEU: 22
; AccumOffset: 24
; Occupancy: 8
; WaveLimiterHint : 0
; COMPUTE_PGM_RSRC2:SCRATCH_EN: 0
; COMPUTE_PGM_RSRC2:USER_SGPR: 6
; COMPUTE_PGM_RSRC2:TRAP_HANDLER: 0
; COMPUTE_PGM_RSRC2:TGID_X_EN: 1
; COMPUTE_PGM_RSRC2:TGID_Y_EN: 1
; COMPUTE_PGM_RSRC2:TGID_Z_EN: 1
; COMPUTE_PGM_RSRC2:TIDIG_COMP_CNT: 0
; COMPUTE_PGM_RSRC3_GFX90A:ACCUM_OFFSET: 5
; COMPUTE_PGM_RSRC3_GFX90A:TG_SPLIT: 0
	.section	.text._ZL15flash_attn_tileILi512ELi512ELi1ELi8ELb0EEvPKcS1_S1_S1_S1_PKiPfP15HIP_vector_typeIfLj2EEffffjfiS5_IjLj3EEiiiiiiiiiiiliiliiiiil,"axG",@progbits,_ZL15flash_attn_tileILi512ELi512ELi1ELi8ELb0EEvPKcS1_S1_S1_S1_PKiPfP15HIP_vector_typeIfLj2EEffffjfiS5_IjLj3EEiiiiiiiiiiiliiliiiiil,comdat
	.globl	_ZL15flash_attn_tileILi512ELi512ELi1ELi8ELb0EEvPKcS1_S1_S1_S1_PKiPfP15HIP_vector_typeIfLj2EEffffjfiS5_IjLj3EEiiiiiiiiiiiliiliiiiil ; -- Begin function _ZL15flash_attn_tileILi512ELi512ELi1ELi8ELb0EEvPKcS1_S1_S1_S1_PKiPfP15HIP_vector_typeIfLj2EEffffjfiS5_IjLj3EEiiiiiiiiiiiliiliiiiil
	.p2align	8
	.type	_ZL15flash_attn_tileILi512ELi512ELi1ELi8ELb0EEvPKcS1_S1_S1_S1_PKiPfP15HIP_vector_typeIfLj2EEffffjfiS5_IjLj3EEiiiiiiiiiiiliiliiiiil,@function
_ZL15flash_attn_tileILi512ELi512ELi1ELi8ELb0EEvPKcS1_S1_S1_S1_PKiPfP15HIP_vector_typeIfLj2EEffffjfiS5_IjLj3EEiiiiiiiiiiiliiliiiiil: ; @_ZL15flash_attn_tileILi512ELi512ELi1ELi8ELb0EEvPKcS1_S1_S1_S1_PKiPfP15HIP_vector_typeIfLj2EEffffjfiS5_IjLj3EEiiiiiiiiiiiliiliiiiil
; %bb.0:
	s_load_dwordx4 s[24:27], s[4:5], 0x5c
	s_load_dwordx2 s[28:29], s[4:5], 0x80
	s_mov_b64 s[30:31], 0
	s_waitcnt lgkmcnt(0)
	s_ashr_i32 s0, s27, 31
	s_lshr_b32 s0, s0, 29
	s_add_i32 s0, s27, s0
	s_ashr_i32 s0, s0, 3
	v_cvt_f32_u32_e32 v1, s0
	s_sub_i32 s1, 0, s0
	v_rcp_iflag_f32_e32 v1, v1
	v_mul_f32_e32 v1, 0x4f7ffffe, v1
	v_cvt_u32_f32_e32 v1, v1
	v_readfirstlane_b32 s2, v1
	s_mul_i32 s1, s1, s2
	s_mul_hi_u32 s1, s2, s1
	s_add_i32 s2, s2, s1
	s_mul_hi_u32 s1, s8, s2
	s_mul_i32 s2, s1, s0
	s_sub_i32 s2, s8, s2
	s_add_i32 s3, s1, 1
	s_sub_i32 s9, s2, s0
	s_cmp_ge_u32 s2, s0
	s_cselect_b32 s1, s3, s1
	s_cselect_b32 s2, s9, s2
	s_add_i32 s3, s1, 1
	s_cmp_ge_u32 s2, s0
	s_cselect_b32 s33, s3, s1
	s_abs_i32 s0, s29
	v_cvt_f32_u32_e32 v1, s0
	s_lshl_b32 s1, s8, 3
	s_mul_i32 s8, s33, s27
	s_xor_b32 s2, s27, s29
	v_rcp_iflag_f32_e32 v1, v1
	s_sub_i32 s9, 0, s0
	s_sub_i32 s29, s1, s8
	s_abs_i32 s3, s27
	v_mul_f32_e32 v1, 0x4f7ffffe, v1
	v_cvt_u32_f32_e32 v1, v1
	s_ashr_i32 s2, s2, 31
	v_readfirstlane_b32 s1, v1
	s_mul_i32 s9, s9, s1
	s_mul_hi_u32 s8, s1, s9
	s_add_i32 s1, s1, s8
	s_mul_hi_u32 s1, s3, s1
	s_mul_i32 s8, s1, s0
	s_sub_i32 s3, s3, s8
	s_add_i32 s9, s1, 1
	s_sub_i32 s8, s3, s0
	s_cmp_ge_u32 s3, s0
	s_cselect_b32 s1, s9, s1
	s_cselect_b32 s3, s8, s3
	s_add_i32 s8, s1, 1
	s_cmp_ge_u32 s3, s0
	s_cselect_b32 s0, s8, s1
	s_xor_b32 s0, s0, s2
	s_sub_i32 s35, s0, s2
	s_abs_i32 s34, s35
	v_cvt_f32_u32_e32 v1, s34
	s_load_dwordx16 s[8:23], s[4:5], 0x0
	s_load_dwordx2 s[0:1], s[4:5], 0xb8
	v_rcp_iflag_f32_e32 v1, v1
	s_waitcnt lgkmcnt(0)
	s_cmp_eq_u64 s[14:15], 0
	v_mul_f32_e32 v1, 0x4f7ffffe, v1
	v_cvt_u32_f32_e32 v1, v1
	v_readfirstlane_b32 s36, v1
	s_cbranch_scc1 .LBB9_2
; %bb.1:
	s_abs_i32 s0, s0
	v_cvt_f32_u32_e32 v1, s0
	s_sub_i32 s37, 0, s0
	s_abs_i32 s31, s33
	s_ashr_i32 s30, s33, 31
	v_rcp_iflag_f32_e32 v1, v1
	s_load_dwordx2 s[2:3], s[4:5], 0xc8
	v_mul_f32_e32 v1, 0x4f7ffffe, v1
	v_cvt_u32_f32_e32 v1, v1
	v_readfirstlane_b32 s38, v1
	s_mul_i32 s37, s37, s38
	s_mul_hi_u32 s37, s38, s37
	s_add_i32 s38, s38, s37
	s_mul_hi_u32 s37, s31, s38
	s_mul_i32 s37, s37, s0
	s_sub_i32 s31, s31, s37
	s_sub_i32 s37, s31, s0
	s_cmp_ge_u32 s31, s0
	s_cselect_b32 s31, s37, s31
	s_sub_i32 s37, s31, s0
	s_cmp_ge_u32 s31, s0
	s_cselect_b32 s0, s37, s31
	s_xor_b32 s0, s0, s30
	s_sub_i32 s0, s0, s30
	s_ashr_i32 s30, s0, 31
	s_waitcnt lgkmcnt(0)
	s_mul_i32 s3, s0, s3
	s_mul_hi_u32 s31, s0, s2
	s_add_i32 s3, s31, s3
	s_mul_i32 s30, s30, s2
	s_add_i32 s3, s3, s30
	s_mul_i32 s0, s0, s2
	s_add_u32 s30, s14, s0
	s_addc_u32 s31, s15, s3
.LBB9_2:
	s_load_dwordx4 s[40:43], s[4:5], 0x70
	v_bfe_u32 v4, v0, 10, 10
	v_and_b32_e32 v32, 7, v4
	v_lshrrev_b32_e32 v1, 3, v4
	v_add_u32_e32 v1, s6, v1
	s_waitcnt lgkmcnt(0)
	s_mul_i32 s0, s33, s42
	s_ashr_i32 s3, s0, 31
	s_mul_i32 s2, s29, s41
	s_add_u32 s0, s8, s0
	s_addc_u32 s3, s9, s3
	s_ashr_i32 s8, s2, 31
	s_add_u32 s0, s0, s2
	s_addc_u32 s8, s3, s8
	s_ashr_i32 s9, s41, 31
	v_mov_b32_e32 v2, s41
	v_alignbit_b32 v2, s9, v2, 2
	v_mad_u64_u32 v[6:7], s[2:3], v2, v32, 0
	v_mov_b32_e32 v2, v7
	s_lshr_b32 s2, s9, 2
	v_mad_u64_u32 v[2:3], s[2:3], s2, v32, v[2:3]
	v_mov_b32_e32 v7, v2
	v_mul_hi_u32 v2, s24, v1
	v_add_u32_e32 v2, v1, v2
	v_lshrrev_b32_e32 v2, s25, v2
	v_mul_lo_u32 v2, v2, s26
	s_ashr_i32 s9, s40, 31
	v_mov_b32_e32 v3, s40
	v_sub_u32_e32 v2, v1, v2
	v_alignbit_b32 v3, s9, v3, 2
	v_mad_u64_u32 v[8:9], s[2:3], v3, v2, 0
	v_mov_b32_e32 v10, v9
	s_lshr_b32 s2, s9, 2
	v_mad_u64_u32 v[10:11], s[2:3], s2, v2, v[10:11]
	v_lshlrev_b64 v[6:7], 2, v[6:7]
	v_mov_b32_e32 v9, v10
	v_mov_b32_e32 v3, s8
	v_add_co_u32_e32 v5, vcc, s0, v6
	v_addc_co_u32_e32 v3, vcc, v3, v7, vcc
	v_lshlrev_b64 v[6:7], 2, v[8:9]
	v_and_b32_e32 v0, 0x3ff, v0
	v_add_co_u32_e32 v5, vcc, v5, v6
	v_addc_co_u32_e32 v3, vcc, v3, v7, vcc
	v_lshlrev_b32_e32 v6, 4, v0
	v_add_co_u32_e32 v22, vcc, v5, v6
	v_addc_co_u32_e32 v23, vcc, 0, v3, vcc
	global_load_dwordx4 v[6:9], v[22:23], off
	global_load_dwordx4 v[10:13], v[22:23], off offset:512
	global_load_dwordx4 v[14:17], v[22:23], off offset:1024
	;; [unrolled: 1-line block ×3, first 2 shown]
	s_load_dword s0, s[4:5], 0x40
	v_lshlrev_b32_e32 v3, 8, v4
	v_lshlrev_b32_e32 v5, 1, v0
	v_add_lshl_u32 v3, v5, v3, 2
	s_mov_b32 s3, 0
	v_add_u32_e32 v3, 0x2000, v3
	s_cmp_eq_u64 s[18:19], 0
	s_waitcnt vmcnt(3) lgkmcnt(0)
	v_pk_mul_f32 v[6:7], v[6:7], s[0:1] op_sel_hi:[1,0]
	v_pk_mul_f32 v[8:9], v[8:9], s[0:1] op_sel_hi:[1,0]
	s_waitcnt vmcnt(2)
	v_pk_mul_f32 v[10:11], v[10:11], s[0:1] op_sel_hi:[1,0]
	v_pk_mul_f32 v[12:13], v[12:13], s[0:1] op_sel_hi:[1,0]
	s_waitcnt vmcnt(1)
	;; [unrolled: 3-line block ×3, first 2 shown]
	v_pk_mul_f32 v[18:19], v[18:19], s[0:1] op_sel_hi:[1,0]
	v_pk_mul_f32 v[20:21], v[20:21], s[0:1] op_sel_hi:[1,0]
	v_cvt_f16_f32_e32 v5, v7
	v_cvt_f16_f32_e32 v6, v6
	;; [unrolled: 1-line block ×16, first 2 shown]
	v_pack_b32_f16 v7, v8, v7
	v_pack_b32_f16 v6, v6, v5
	;; [unrolled: 1-line block ×8, first 2 shown]
	ds_write2_b64 v3, v[6:7], v[8:9] offset0:128 offset1:160
	ds_write2_b64 v3, v[10:11], v[12:13] offset0:192 offset1:224
	s_waitcnt lgkmcnt(0)
	s_barrier
	s_cbranch_scc1 .LBB9_4
; %bb.3:
	s_load_dword s0, s[4:5], 0xd0
	s_waitcnt lgkmcnt(0)
	s_mul_i32 s0, s0, s33
	s_add_i32 s2, s0, s6
	s_lshl_b64 s[2:3], s[2:3], 2
	s_add_u32 s2, s18, s2
	s_addc_u32 s3, s19, s3
	s_load_dword s28, s[2:3], 0x0
.LBB9_4:
	s_lshl_b32 s6, s7, 6
	v_lshlrev_b32_e32 v33, 2, v0
	s_waitcnt lgkmcnt(0)
	s_cmp_lt_i32 s6, s28
	v_mbcnt_lo_u32_b32 v9, -1, 0
	s_cbranch_scc1 .LBB9_6
; %bb.5:
	v_mbcnt_hi_u32_b32 v3, -1, v9
	v_and_b32_e32 v5, 0x60, v3
	s_mov_b32 s0, 0
	v_add_u32_e32 v34, 32, v5
	v_xor_b32_e32 v39, 16, v3
	v_xor_b32_e32 v38, 8, v3
	;; [unrolled: 1-line block ×5, first 2 shown]
	s_mov_b64 s[2:3], 0
	s_mov_b32 s8, 0xfeffffff
	s_branch .LBB9_7
.LBB9_6:
	s_mov_b64 s[2:3], -1
                                        ; implicit-def: $sgpr8
                                        ; implicit-def: $sgpr0
                                        ; implicit-def: $vgpr3
                                        ; implicit-def: $vgpr34
                                        ; implicit-def: $vgpr39
                                        ; implicit-def: $vgpr38
                                        ; implicit-def: $vgpr37
                                        ; implicit-def: $vgpr36
                                        ; implicit-def: $vgpr35
.LBB9_7:
	s_andn2_b64 vcc, exec, s[2:3]
	v_mov_b32_e32 v8, s8
	v_mov_b32_e32 v10, s0
	;; [unrolled: 1-line block ×10, first 2 shown]
	s_cbranch_vccnz .LBB9_10
; %bb.8:
	s_sub_i32 s0, 0, s34
	s_mul_i32 s0, s0, s36
	s_mul_hi_u32 s0, s36, s0
	s_add_i32 s0, s36, s0
	s_load_dwordx2 s[2:3], s[4:5], 0x8c
	s_load_dwordx4 s[36:39], s[4:5], 0x98
	s_ashr_i32 s18, s35, 31
	s_abs_i32 s14, s29
	s_ashr_i32 s15, s29, 31
	s_waitcnt lgkmcnt(0)
	s_ashr_i32 s25, s2, 2
	s_ashr_i32 s2, s33, 31
	s_mul_i32 s19, s33, s37
	s_mul_hi_u32 s35, s33, s36
	s_add_i32 s19, s35, s19
	s_mul_i32 s35, s2, s36
	s_ashr_i32 s24, s38, 2
	s_ashr_i32 s1, s1, 1
	s_add_i32 s19, s19, s35
	s_mul_i32 s35, s33, s36
	s_mul_hi_u32 s0, s14, s0
	s_add_u32 s10, s10, s35
	s_addc_u32 s11, s11, s19
	s_xor_b32 s15, s15, s18
	s_mul_i32 s18, s0, s34
	s_sub_i32 s14, s14, s18
	s_add_i32 s18, s0, 1
	s_sub_i32 s19, s14, s34
	s_cmp_ge_u32 s14, s34
	s_cselect_b32 s0, s18, s0
	s_cselect_b32 s14, s19, s14
	s_add_i32 s18, s0, 1
	s_cmp_ge_u32 s14, s34
	s_load_dwordx2 s[8:9], s[4:5], 0xa8
	s_cselect_b32 s0, s18, s0
	s_xor_b32 s0, s0, s15
	s_sub_i32 s0, s0, s15
	s_mul_i32 s3, s0, s3
	s_ashr_i32 s14, s3, 31
	s_add_u32 s34, s10, s3
	s_waitcnt lgkmcnt(0)
	s_mul_i32 s3, s33, s9
	s_mul_hi_u32 s9, s33, s8
	s_addc_u32 s35, s11, s14
	s_add_i32 s3, s9, s3
	s_mul_i32 s2, s2, s8
	s_add_i32 s3, s3, s2
	s_mul_i32 s2, s33, s8
	s_add_u32 s2, s12, s2
	s_mul_i32 s0, s0, s39
	s_addc_u32 s3, s13, s3
	s_ashr_i32 s8, s0, 31
	v_lshrrev_b32_e32 v3, 3, v0
	v_and_b32_e32 v6, 28, v33
	s_add_u32 s2, s2, s0
	v_lshl_add_u32 v3, v4, 2, v3
	v_lshlrev_b32_e32 v5, 2, v6
	s_movk_i32 s0, 0x90
	v_mad_u32_u24 v40, v3, s0, v5
	v_mul_lo_u32 v10, s25, v3
	v_mad_u64_u32 v[2:3], s[0:1], v2, s1, v[0:1]
	v_mov_b32_e32 v3, 0x4400
	v_lshlrev_b32_e32 v5, 10, v4
	v_lshl_add_u32 v44, v4, 7, v3
	v_lshlrev_b32_e32 v3, 2, v33
	v_mul_lo_u32 v4, s24, v4
	v_add_u32_e32 v42, 0x2400, v5
	v_add_u32_e32 v46, v5, v3
	v_ashrrev_i32_e32 v5, 31, v4
	s_addc_u32 s3, s3, s8
	v_lshlrev_b64 v[4:5], 2, v[4:5]
	v_mov_b32_e32 v7, s3
	v_add_co_u32_e32 v4, vcc, s2, v4
	v_addc_co_u32_e32 v5, vcc, v7, v5, vcc
	v_lshl_add_u32 v12, s25, 5, v10
	v_add_co_u32_e32 v49, vcc, v4, v3
	v_mbcnt_hi_u32_b32 v3, -1, v9
	v_ashrrev_i32_e32 v11, 31, v10
	v_ashrrev_i32_e32 v13, 31, v12
	v_lshlrev_b32_e32 v48, 3, v0
	s_add_u32 s18, s4, 0xd0
	v_and_b32_e32 v9, 0x60, v3
	v_mov_b32_e32 v57, 0
	v_add_u32_e32 v41, 0x1200, v40
	v_mul_u32_u24_e32 v43, 0x90, v0
	v_lshl_add_u32 v45, v0, 1, v44
	v_add_u32_e32 v47, 0x200, v46
	s_addc_u32 s19, s5, 0
	v_addc_co_u32_e32 v50, vcc, 0, v5, vcc
	v_mov_b32_e32 v8, 0xfeffffff
	v_lshlrev_b64 v[4:5], 2, v[10:11]
	v_lshlrev_b32_e32 v51, 2, v6
	v_lshlrev_b64 v[6:7], 2, v[12:13]
	v_mov_b32_e32 v52, s31
	v_add_u32_e32 v34, 32, v9
	v_xor_b32_e32 v39, 16, v3
	v_xor_b32_e32 v38, 8, v3
	;; [unrolled: 1-line block ×5, first 2 shown]
	s_mov_b32 s31, 0x3fb8aa3b
	s_mov_b32 s36, 0xc2ce8ed0
	s_mov_b32 s37, 0x42b17218
	v_mov_b32_e32 v53, 0x7f800000
	v_add_u32_e32 v54, 0x800, v48
	v_add_u32_e32 v55, 0x1000, v48
	;; [unrolled: 1-line block ×3, first 2 shown]
	v_mov_b32_e32 v58, 0
	v_mov_b32_e32 v59, 0
	;; [unrolled: 1-line block ×8, first 2 shown]
.LBB9_9:                                ; =>This Inner Loop Header: Depth=1
	v_cmp_lt_i32_e32 vcc, v39, v34
	v_cndmask_b32_e32 v11, v3, v39, vcc
	v_cmp_lt_i32_e32 vcc, v38, v34
	s_mul_hi_i32 s1, s6, s25
	s_mul_i32 s0, s6, s25
	v_add_u32_e32 v12, s6, v2
	v_cndmask_b32_e32 v14, v3, v38, vcc
	v_cmp_lt_i32_e32 vcc, v37, v34
	v_cndmask_b32_e32 v15, v3, v37, vcc
	v_cmp_lt_i32_e32 vcc, v36, v34
	s_lshl_b64 s[0:1], s[0:1], 2
	v_ashrrev_i32_e32 v13, 31, v12
	v_cndmask_b32_e32 v16, v3, v36, vcc
	v_cmp_lt_i32_e32 vcc, v35, v34
	v_mov_b32_e32 v66, v10
	s_mul_hi_i32 s9, s6, s24
	s_mul_i32 s8, s6, s24
	v_lshlrev_b32_e32 v71, 2, v11
	s_add_u32 s2, s34, s0
	v_lshlrev_b64 v[10:11], 1, v[12:13]
	v_cndmask_b32_e32 v17, v3, v35, vcc
	s_addc_u32 s3, s35, s1
	v_add_co_u32_e32 v10, vcc, s30, v10
	s_lshl_b64 s[0:1], s[8:9], 2
	v_lshlrev_b32_e32 v69, 2, v15
	v_addc_co_u32_e32 v11, vcc, v52, v11, vcc
	v_mov_b32_e32 v15, s1
	v_add_co_u32_e64 v26, s[0:1], s0, v49
	v_lshlrev_b32_e32 v70, 2, v14
	v_lshlrev_b32_e32 v68, 2, v16
	v_mov_b32_e32 v12, s3
	v_mov_b32_e32 v13, s3
	v_add_co_u32_e32 v14, vcc, s2, v6
	v_add_co_u32_e64 v16, s[2:3], s2, v4
	v_addc_co_u32_e64 v27, s[0:1], v50, v15, s[0:1]
	v_addc_co_u32_e64 v12, s[2:3], v12, v5, s[2:3]
	v_addc_co_u32_e32 v13, vcc, v13, v7, vcc
	v_add_co_u32_e64 v30, s[0:1], v16, v51
	v_add_co_u32_e32 v28, vcc, v14, v51
	v_addc_co_u32_e64 v31, s[0:1], 0, v12, s[0:1]
	v_addc_co_u32_e32 v29, vcc, 0, v13, vcc
	global_load_dwordx4 v[72:75], v[30:31], off
	global_load_dwordx4 v[76:79], v[28:29], off
	s_or_b32 s8, s6, 8
	s_or_b32 s9, s6, 16
	;; [unrolled: 1-line block ×7, first 2 shown]
	s_mul_hi_i32 s15, s8, s24
	s_mul_i32 s14, s8, s24
	s_mul_hi_i32 s39, s9, s24
	s_mul_i32 s38, s9, s24
	;; [unrolled: 2-line block ×7, first 2 shown]
	s_lshl_b64 s[2:3], s[14:15], 2
	s_lshl_b64 s[14:15], s[38:39], 2
	;; [unrolled: 1-line block ×7, first 2 shown]
	v_lshlrev_b32_e32 v67, 2, v17
	v_mov_b32_e32 v13, s3
	v_add_co_u32_e32 v24, vcc, s2, v49
	v_mov_b32_e32 v15, s15
	v_add_co_u32_e64 v22, s[0:1], s14, v49
	v_mov_b32_e32 v17, s9
	v_add_co_u32_e64 v20, s[2:3], s8, v49
	;; [unrolled: 2-line block ×5, first 2 shown]
	v_addc_co_u32_e32 v25, vcc, v50, v13, vcc
	v_addc_co_u32_e64 v23, vcc, v50, v15, s[0:1]
	v_addc_co_u32_e64 v21, vcc, v50, v17, s[2:3]
	v_addc_co_u32_e64 v17, vcc, v50, v80, s[10:11]
	v_addc_co_u32_e64 v15, vcc, v50, v81, s[12:13]
	v_addc_co_u32_e64 v13, vcc, v50, v82, s[14:15]
	s_waitcnt vmcnt(1)
	ds_write_b128 v40, v[72:75]
	s_waitcnt vmcnt(0)
	ds_write_b128 v41, v[76:79]
	s_waitcnt lgkmcnt(0)
	s_barrier
	ds_read_b128 v[72:75], v43
	ds_read_b128 v[76:79], v42
	ds_read_b128 v[80:83], v43 offset:4608
	v_mov_b32_e32 v65, v8
	v_mov_b32_e32 v8, 0
	s_waitcnt lgkmcnt(1)
	;;#ASMSTART
	v_dot2_f32_f16 v8, v72, v76, v8
	;;#ASMEND
	;;#ASMSTART
	v_dot2_f32_f16 v8, v73, v77, v8
	;;#ASMEND
	v_mov_b32_e32 v9, 0
	;;#ASMSTART
	v_dot2_f32_f16 v8, v74, v78, v8
	;;#ASMEND
	;;#ASMSTART
	v_dot2_f32_f16 v8, v75, v79, v8
	;;#ASMEND
	s_waitcnt lgkmcnt(0)
	;;#ASMSTART
	v_dot2_f32_f16 v9, v80, v76, v9
	;;#ASMEND
	;;#ASMSTART
	v_dot2_f32_f16 v9, v81, v77, v9
	;;#ASMEND
	;;#ASMSTART
	v_dot2_f32_f16 v9, v82, v78, v9
	;;#ASMEND
	;;#ASMSTART
	v_dot2_f32_f16 v9, v83, v79, v9
	;;#ASMEND
	ds_read_b128 v[72:75], v43 offset:16
	ds_read_b128 v[76:79], v42 offset:16
	ds_read_b128 v[80:83], v43 offset:4624
	s_waitcnt lgkmcnt(1)
	;;#ASMSTART
	v_dot2_f32_f16 v8, v72, v76, v8
	;;#ASMEND
	;;#ASMSTART
	v_dot2_f32_f16 v8, v73, v77, v8
	;;#ASMEND
	;;#ASMSTART
	v_dot2_f32_f16 v8, v74, v78, v8
	;;#ASMEND
	;;#ASMSTART
	v_dot2_f32_f16 v8, v75, v79, v8
	;;#ASMEND
	s_waitcnt lgkmcnt(0)
	;;#ASMSTART
	v_dot2_f32_f16 v9, v80, v76, v9
	;;#ASMEND
	;;#ASMSTART
	v_dot2_f32_f16 v9, v81, v77, v9
	;;#ASMEND
	;;#ASMSTART
	v_dot2_f32_f16 v9, v82, v78, v9
	;;#ASMEND
	;;#ASMSTART
	v_dot2_f32_f16 v9, v83, v79, v9
	;;#ASMEND
	ds_read_b128 v[72:75], v43 offset:32
	ds_read_b128 v[76:79], v42 offset:32
	ds_read_b128 v[80:83], v43 offset:4640
	s_waitcnt lgkmcnt(1)
	;;#ASMSTART
	v_dot2_f32_f16 v8, v72, v76, v8
	;;#ASMEND
	;;#ASMSTART
	v_dot2_f32_f16 v8, v73, v77, v8
	;;#ASMEND
	;; [unrolled: 29-line block ×7, first 2 shown]
	;;#ASMSTART
	v_dot2_f32_f16 v8, v74, v78, v8
	;;#ASMEND
	;;#ASMSTART
	v_dot2_f32_f16 v8, v75, v79, v8
	;;#ASMEND
	s_waitcnt lgkmcnt(0)
	;;#ASMSTART
	v_dot2_f32_f16 v9, v80, v76, v9
	;;#ASMEND
	;;#ASMSTART
	v_dot2_f32_f16 v9, v81, v77, v9
	;;#ASMEND
	;; [unrolled: 3-line block ×4, first 2 shown]
	s_barrier
	global_load_dwordx4 v[72:75], v[30:31], off offset:128
	global_load_dwordx4 v[76:79], v[28:29], off offset:128
	v_mov_b32_e32 v19, s39
	v_add_co_u32_e64 v18, s[8:9], s38, v49
	v_addc_co_u32_e64 v19, vcc, v50, v19, s[8:9]
	s_waitcnt vmcnt(1)
	ds_write_b128 v40, v[72:75]
	s_waitcnt vmcnt(0)
	ds_write_b128 v41, v[76:79]
	s_waitcnt lgkmcnt(0)
	s_barrier
	ds_read_b128 v[72:75], v43
	ds_read_b128 v[76:79], v42 offset:128
	ds_read_b128 v[80:83], v43 offset:4608
	s_waitcnt lgkmcnt(1)
	;;#ASMSTART
	v_dot2_f32_f16 v8, v72, v76, v8
	;;#ASMEND
	;;#ASMSTART
	v_dot2_f32_f16 v8, v73, v77, v8
	;;#ASMEND
	;;#ASMSTART
	v_dot2_f32_f16 v8, v74, v78, v8
	;;#ASMEND
	;;#ASMSTART
	v_dot2_f32_f16 v8, v75, v79, v8
	;;#ASMEND
	s_waitcnt lgkmcnt(0)
	;;#ASMSTART
	v_dot2_f32_f16 v9, v80, v76, v9
	;;#ASMEND
	;;#ASMSTART
	v_dot2_f32_f16 v9, v81, v77, v9
	;;#ASMEND
	;;#ASMSTART
	v_dot2_f32_f16 v9, v82, v78, v9
	;;#ASMEND
	;;#ASMSTART
	v_dot2_f32_f16 v9, v83, v79, v9
	;;#ASMEND
	ds_read_b128 v[72:75], v43 offset:16
	ds_read_b128 v[76:79], v42 offset:144
	ds_read_b128 v[80:83], v43 offset:4624
	s_waitcnt lgkmcnt(1)
	;;#ASMSTART
	v_dot2_f32_f16 v8, v72, v76, v8
	;;#ASMEND
	;;#ASMSTART
	v_dot2_f32_f16 v8, v73, v77, v8
	;;#ASMEND
	;;#ASMSTART
	v_dot2_f32_f16 v8, v74, v78, v8
	;;#ASMEND
	;;#ASMSTART
	v_dot2_f32_f16 v8, v75, v79, v8
	;;#ASMEND
	s_waitcnt lgkmcnt(0)
	;;#ASMSTART
	v_dot2_f32_f16 v9, v80, v76, v9
	;;#ASMEND
	;;#ASMSTART
	v_dot2_f32_f16 v9, v81, v77, v9
	;;#ASMEND
	;;#ASMSTART
	v_dot2_f32_f16 v9, v82, v78, v9
	;;#ASMEND
	;;#ASMSTART
	v_dot2_f32_f16 v9, v83, v79, v9
	;;#ASMEND
	ds_read_b128 v[72:75], v43 offset:32
	;; [unrolled: 29-line block ×7, first 2 shown]
	ds_read_b128 v[76:79], v42 offset:240
	ds_read_b128 v[80:83], v43 offset:4720
	s_waitcnt lgkmcnt(1)
	;;#ASMSTART
	v_dot2_f32_f16 v8, v72, v76, v8
	;;#ASMEND
	;;#ASMSTART
	v_dot2_f32_f16 v8, v73, v77, v8
	;;#ASMEND
	;; [unrolled: 3-line block ×4, first 2 shown]
	s_waitcnt lgkmcnt(0)
	;;#ASMSTART
	v_dot2_f32_f16 v9, v80, v76, v9
	;;#ASMEND
	;;#ASMSTART
	v_dot2_f32_f16 v9, v81, v77, v9
	;;#ASMEND
	;; [unrolled: 3-line block ×4, first 2 shown]
	s_barrier
	global_load_dwordx4 v[72:75], v[30:31], off offset:256
	global_load_dwordx4 v[76:79], v[28:29], off offset:256
	s_waitcnt vmcnt(1)
	ds_write_b128 v40, v[72:75]
	s_waitcnt vmcnt(0)
	ds_write_b128 v41, v[76:79]
	s_waitcnt lgkmcnt(0)
	s_barrier
	ds_read_b128 v[72:75], v43
	ds_read_b128 v[76:79], v42 offset:256
	ds_read_b128 v[80:83], v43 offset:4608
	s_waitcnt lgkmcnt(1)
	;;#ASMSTART
	v_dot2_f32_f16 v8, v72, v76, v8
	;;#ASMEND
	;;#ASMSTART
	v_dot2_f32_f16 v8, v73, v77, v8
	;;#ASMEND
	;;#ASMSTART
	v_dot2_f32_f16 v8, v74, v78, v8
	;;#ASMEND
	;;#ASMSTART
	v_dot2_f32_f16 v8, v75, v79, v8
	;;#ASMEND
	s_waitcnt lgkmcnt(0)
	;;#ASMSTART
	v_dot2_f32_f16 v9, v80, v76, v9
	;;#ASMEND
	;;#ASMSTART
	v_dot2_f32_f16 v9, v81, v77, v9
	;;#ASMEND
	;;#ASMSTART
	v_dot2_f32_f16 v9, v82, v78, v9
	;;#ASMEND
	;;#ASMSTART
	v_dot2_f32_f16 v9, v83, v79, v9
	;;#ASMEND
	ds_read_b128 v[72:75], v43 offset:16
	ds_read_b128 v[76:79], v42 offset:272
	ds_read_b128 v[80:83], v43 offset:4624
	s_waitcnt lgkmcnt(1)
	;;#ASMSTART
	v_dot2_f32_f16 v8, v72, v76, v8
	;;#ASMEND
	;;#ASMSTART
	v_dot2_f32_f16 v8, v73, v77, v8
	;;#ASMEND
	;;#ASMSTART
	v_dot2_f32_f16 v8, v74, v78, v8
	;;#ASMEND
	;;#ASMSTART
	v_dot2_f32_f16 v8, v75, v79, v8
	;;#ASMEND
	s_waitcnt lgkmcnt(0)
	;;#ASMSTART
	v_dot2_f32_f16 v9, v80, v76, v9
	;;#ASMEND
	;;#ASMSTART
	v_dot2_f32_f16 v9, v81, v77, v9
	;;#ASMEND
	;;#ASMSTART
	v_dot2_f32_f16 v9, v82, v78, v9
	;;#ASMEND
	;;#ASMSTART
	v_dot2_f32_f16 v9, v83, v79, v9
	;;#ASMEND
	ds_read_b128 v[72:75], v43 offset:32
	;; [unrolled: 29-line block ×7, first 2 shown]
	ds_read_b128 v[76:79], v42 offset:368
	ds_read_b128 v[80:83], v43 offset:4720
	s_waitcnt lgkmcnt(1)
	;;#ASMSTART
	v_dot2_f32_f16 v8, v72, v76, v8
	;;#ASMEND
	;;#ASMSTART
	v_dot2_f32_f16 v8, v73, v77, v8
	;;#ASMEND
	;; [unrolled: 3-line block ×4, first 2 shown]
	s_waitcnt lgkmcnt(0)
	;;#ASMSTART
	v_dot2_f32_f16 v9, v80, v76, v9
	;;#ASMEND
	;;#ASMSTART
	v_dot2_f32_f16 v9, v81, v77, v9
	;;#ASMEND
	;; [unrolled: 3-line block ×4, first 2 shown]
	s_barrier
	global_load_dwordx4 v[72:75], v[30:31], off offset:384
	global_load_dwordx4 v[76:79], v[28:29], off offset:384
	s_waitcnt vmcnt(1)
	ds_write_b128 v40, v[72:75]
	s_waitcnt vmcnt(0)
	ds_write_b128 v41, v[76:79]
	s_waitcnt lgkmcnt(0)
	s_barrier
	ds_read_b128 v[72:75], v43
	ds_read_b128 v[76:79], v42 offset:384
	ds_read_b128 v[80:83], v43 offset:4608
	s_waitcnt lgkmcnt(1)
	;;#ASMSTART
	v_dot2_f32_f16 v8, v72, v76, v8
	;;#ASMEND
	;;#ASMSTART
	v_dot2_f32_f16 v8, v73, v77, v8
	;;#ASMEND
	;;#ASMSTART
	v_dot2_f32_f16 v8, v74, v78, v8
	;;#ASMEND
	;;#ASMSTART
	v_dot2_f32_f16 v8, v75, v79, v8
	;;#ASMEND
	s_waitcnt lgkmcnt(0)
	;;#ASMSTART
	v_dot2_f32_f16 v9, v80, v76, v9
	;;#ASMEND
	;;#ASMSTART
	v_dot2_f32_f16 v9, v81, v77, v9
	;;#ASMEND
	;;#ASMSTART
	v_dot2_f32_f16 v9, v82, v78, v9
	;;#ASMEND
	;;#ASMSTART
	v_dot2_f32_f16 v9, v83, v79, v9
	;;#ASMEND
	ds_read_b128 v[72:75], v43 offset:16
	ds_read_b128 v[76:79], v42 offset:400
	ds_read_b128 v[80:83], v43 offset:4624
	s_waitcnt lgkmcnt(1)
	;;#ASMSTART
	v_dot2_f32_f16 v8, v72, v76, v8
	;;#ASMEND
	;;#ASMSTART
	v_dot2_f32_f16 v8, v73, v77, v8
	;;#ASMEND
	;;#ASMSTART
	v_dot2_f32_f16 v8, v74, v78, v8
	;;#ASMEND
	;;#ASMSTART
	v_dot2_f32_f16 v8, v75, v79, v8
	;;#ASMEND
	s_waitcnt lgkmcnt(0)
	;;#ASMSTART
	v_dot2_f32_f16 v9, v80, v76, v9
	;;#ASMEND
	;;#ASMSTART
	v_dot2_f32_f16 v9, v81, v77, v9
	;;#ASMEND
	;;#ASMSTART
	v_dot2_f32_f16 v9, v82, v78, v9
	;;#ASMEND
	;;#ASMSTART
	v_dot2_f32_f16 v9, v83, v79, v9
	;;#ASMEND
	ds_read_b128 v[72:75], v43 offset:32
	ds_read_b128 v[76:79], v42 offset:416
	ds_read_b128 v[80:83], v43 offset:4640
	s_waitcnt lgkmcnt(1)
	;;#ASMSTART
	v_dot2_f32_f16 v8, v72, v76, v8
	;;#ASMEND
	;;#ASMSTART
	v_dot2_f32_f16 v8, v73, v77, v8
	;;#ASMEND
	;;#ASMSTART
	v_dot2_f32_f16 v8, v74, v78, v8
	;;#ASMEND
	;;#ASMSTART
	v_dot2_f32_f16 v8, v75, v79, v8
	;;#ASMEND
	s_waitcnt lgkmcnt(0)
	;;#ASMSTART
	v_dot2_f32_f16 v9, v80, v76, v9
	;;#ASMEND
	;;#ASMSTART
	v_dot2_f32_f16 v9, v81, v77, v9
	;;#ASMEND
	;;#ASMSTART
	v_dot2_f32_f16 v9, v82, v78, v9
	;;#ASMEND
	;;#ASMSTART
	v_dot2_f32_f16 v9, v83, v79, v9
	;;#ASMEND
	ds_read_b128 v[72:75], v43 offset:48
	ds_read_b128 v[76:79], v42 offset:432
	ds_read_b128 v[80:83], v43 offset:4656
	s_waitcnt lgkmcnt(1)
	;;#ASMSTART
	v_dot2_f32_f16 v8, v72, v76, v8
	;;#ASMEND
	;;#ASMSTART
	v_dot2_f32_f16 v8, v73, v77, v8
	;;#ASMEND
	;;#ASMSTART
	v_dot2_f32_f16 v8, v74, v78, v8
	;;#ASMEND
	;;#ASMSTART
	v_dot2_f32_f16 v8, v75, v79, v8
	;;#ASMEND
	s_waitcnt lgkmcnt(0)
	;;#ASMSTART
	v_dot2_f32_f16 v9, v80, v76, v9
	;;#ASMEND
	;;#ASMSTART
	v_dot2_f32_f16 v9, v81, v77, v9
	;;#ASMEND
	;;#ASMSTART
	v_dot2_f32_f16 v9, v82, v78, v9
	;;#ASMEND
	;;#ASMSTART
	v_dot2_f32_f16 v9, v83, v79, v9
	;;#ASMEND
	ds_read_b128 v[72:75], v43 offset:64
	ds_read_b128 v[76:79], v42 offset:448
	ds_read_b128 v[80:83], v43 offset:4672
	s_waitcnt lgkmcnt(1)
	;;#ASMSTART
	v_dot2_f32_f16 v8, v72, v76, v8
	;;#ASMEND
	;;#ASMSTART
	v_dot2_f32_f16 v8, v73, v77, v8
	;;#ASMEND
	;;#ASMSTART
	v_dot2_f32_f16 v8, v74, v78, v8
	;;#ASMEND
	;;#ASMSTART
	v_dot2_f32_f16 v8, v75, v79, v8
	;;#ASMEND
	s_waitcnt lgkmcnt(0)
	;;#ASMSTART
	v_dot2_f32_f16 v9, v80, v76, v9
	;;#ASMEND
	;;#ASMSTART
	v_dot2_f32_f16 v9, v81, v77, v9
	;;#ASMEND
	;;#ASMSTART
	v_dot2_f32_f16 v9, v82, v78, v9
	;;#ASMEND
	;;#ASMSTART
	v_dot2_f32_f16 v9, v83, v79, v9
	;;#ASMEND
	ds_read_b128 v[72:75], v43 offset:80
	ds_read_b128 v[76:79], v42 offset:464
	ds_read_b128 v[80:83], v43 offset:4688
	s_waitcnt lgkmcnt(1)
	;;#ASMSTART
	v_dot2_f32_f16 v8, v72, v76, v8
	;;#ASMEND
	;;#ASMSTART
	v_dot2_f32_f16 v8, v73, v77, v8
	;;#ASMEND
	;;#ASMSTART
	v_dot2_f32_f16 v8, v74, v78, v8
	;;#ASMEND
	;;#ASMSTART
	v_dot2_f32_f16 v8, v75, v79, v8
	;;#ASMEND
	s_waitcnt lgkmcnt(0)
	;;#ASMSTART
	v_dot2_f32_f16 v9, v80, v76, v9
	;;#ASMEND
	;;#ASMSTART
	v_dot2_f32_f16 v9, v81, v77, v9
	;;#ASMEND
	;;#ASMSTART
	v_dot2_f32_f16 v9, v82, v78, v9
	;;#ASMEND
	;;#ASMSTART
	v_dot2_f32_f16 v9, v83, v79, v9
	;;#ASMEND
	ds_read_b128 v[72:75], v43 offset:96
	ds_read_b128 v[76:79], v42 offset:480
	ds_read_b128 v[80:83], v43 offset:4704
	s_waitcnt lgkmcnt(1)
	;;#ASMSTART
	v_dot2_f32_f16 v8, v72, v76, v8
	;;#ASMEND
	;;#ASMSTART
	v_dot2_f32_f16 v8, v73, v77, v8
	;;#ASMEND
	;;#ASMSTART
	v_dot2_f32_f16 v8, v74, v78, v8
	;;#ASMEND
	;;#ASMSTART
	v_dot2_f32_f16 v8, v75, v79, v8
	;;#ASMEND
	s_waitcnt lgkmcnt(0)
	;;#ASMSTART
	v_dot2_f32_f16 v9, v80, v76, v9
	;;#ASMEND
	;;#ASMSTART
	v_dot2_f32_f16 v9, v81, v77, v9
	;;#ASMEND
	;;#ASMSTART
	v_dot2_f32_f16 v9, v82, v78, v9
	;;#ASMEND
	;;#ASMSTART
	v_dot2_f32_f16 v9, v83, v79, v9
	;;#ASMEND
	ds_read_b128 v[72:75], v43 offset:112
	ds_read_b128 v[76:79], v42 offset:496
	ds_read_b128 v[80:83], v43 offset:4720
	s_waitcnt lgkmcnt(1)
	;;#ASMSTART
	v_dot2_f32_f16 v8, v72, v76, v8
	;;#ASMEND
	;;#ASMSTART
	v_dot2_f32_f16 v8, v73, v77, v8
	;;#ASMEND
	;; [unrolled: 3-line block ×4, first 2 shown]
	s_waitcnt lgkmcnt(0)
	;;#ASMSTART
	v_dot2_f32_f16 v9, v80, v76, v9
	;;#ASMEND
	;;#ASMSTART
	v_dot2_f32_f16 v9, v81, v77, v9
	;;#ASMEND
	;; [unrolled: 3-line block ×4, first 2 shown]
	s_barrier
	global_load_dwordx4 v[72:75], v[30:31], off offset:512
	global_load_dwordx4 v[76:79], v[28:29], off offset:512
	s_waitcnt vmcnt(1)
	ds_write_b128 v40, v[72:75]
	s_waitcnt vmcnt(0)
	ds_write_b128 v41, v[76:79]
	s_waitcnt lgkmcnt(0)
	s_barrier
	ds_read_b128 v[72:75], v43
	ds_read_b128 v[76:79], v42 offset:512
	ds_read_b128 v[80:83], v43 offset:4608
	s_waitcnt lgkmcnt(1)
	;;#ASMSTART
	v_dot2_f32_f16 v8, v72, v76, v8
	;;#ASMEND
	;;#ASMSTART
	v_dot2_f32_f16 v8, v73, v77, v8
	;;#ASMEND
	;;#ASMSTART
	v_dot2_f32_f16 v8, v74, v78, v8
	;;#ASMEND
	;;#ASMSTART
	v_dot2_f32_f16 v8, v75, v79, v8
	;;#ASMEND
	s_waitcnt lgkmcnt(0)
	;;#ASMSTART
	v_dot2_f32_f16 v9, v80, v76, v9
	;;#ASMEND
	;;#ASMSTART
	v_dot2_f32_f16 v9, v81, v77, v9
	;;#ASMEND
	;;#ASMSTART
	v_dot2_f32_f16 v9, v82, v78, v9
	;;#ASMEND
	;;#ASMSTART
	v_dot2_f32_f16 v9, v83, v79, v9
	;;#ASMEND
	ds_read_b128 v[72:75], v43 offset:16
	ds_read_b128 v[76:79], v42 offset:528
	ds_read_b128 v[80:83], v43 offset:4624
	s_waitcnt lgkmcnt(1)
	;;#ASMSTART
	v_dot2_f32_f16 v8, v72, v76, v8
	;;#ASMEND
	;;#ASMSTART
	v_dot2_f32_f16 v8, v73, v77, v8
	;;#ASMEND
	;;#ASMSTART
	v_dot2_f32_f16 v8, v74, v78, v8
	;;#ASMEND
	;;#ASMSTART
	v_dot2_f32_f16 v8, v75, v79, v8
	;;#ASMEND
	s_waitcnt lgkmcnt(0)
	;;#ASMSTART
	v_dot2_f32_f16 v9, v80, v76, v9
	;;#ASMEND
	;;#ASMSTART
	v_dot2_f32_f16 v9, v81, v77, v9
	;;#ASMEND
	;;#ASMSTART
	v_dot2_f32_f16 v9, v82, v78, v9
	;;#ASMEND
	;;#ASMSTART
	v_dot2_f32_f16 v9, v83, v79, v9
	;;#ASMEND
	ds_read_b128 v[72:75], v43 offset:32
	;; [unrolled: 29-line block ×7, first 2 shown]
	ds_read_b128 v[76:79], v42 offset:624
	ds_read_b128 v[80:83], v43 offset:4720
	s_waitcnt lgkmcnt(1)
	;;#ASMSTART
	v_dot2_f32_f16 v8, v72, v76, v8
	;;#ASMEND
	;;#ASMSTART
	v_dot2_f32_f16 v8, v73, v77, v8
	;;#ASMEND
	;; [unrolled: 3-line block ×4, first 2 shown]
	s_waitcnt lgkmcnt(0)
	;;#ASMSTART
	v_dot2_f32_f16 v9, v80, v76, v9
	;;#ASMEND
	;;#ASMSTART
	v_dot2_f32_f16 v9, v81, v77, v9
	;;#ASMEND
	;;#ASMSTART
	v_dot2_f32_f16 v9, v82, v78, v9
	;;#ASMEND
	;;#ASMSTART
	v_dot2_f32_f16 v9, v83, v79, v9
	;;#ASMEND
	s_barrier
	global_load_dwordx4 v[72:75], v[30:31], off offset:640
	global_load_dwordx4 v[76:79], v[28:29], off offset:640
	s_waitcnt vmcnt(1)
	ds_write_b128 v40, v[72:75]
	s_waitcnt vmcnt(0)
	ds_write_b128 v41, v[76:79]
	s_waitcnt lgkmcnt(0)
	s_barrier
	ds_read_b128 v[72:75], v43
	ds_read_b128 v[76:79], v42 offset:640
	ds_read_b128 v[80:83], v43 offset:4608
	s_waitcnt lgkmcnt(1)
	;;#ASMSTART
	v_dot2_f32_f16 v8, v72, v76, v8
	;;#ASMEND
	;;#ASMSTART
	v_dot2_f32_f16 v8, v73, v77, v8
	;;#ASMEND
	;;#ASMSTART
	v_dot2_f32_f16 v8, v74, v78, v8
	;;#ASMEND
	;;#ASMSTART
	v_dot2_f32_f16 v8, v75, v79, v8
	;;#ASMEND
	s_waitcnt lgkmcnt(0)
	;;#ASMSTART
	v_dot2_f32_f16 v9, v80, v76, v9
	;;#ASMEND
	;;#ASMSTART
	v_dot2_f32_f16 v9, v81, v77, v9
	;;#ASMEND
	;;#ASMSTART
	v_dot2_f32_f16 v9, v82, v78, v9
	;;#ASMEND
	;;#ASMSTART
	v_dot2_f32_f16 v9, v83, v79, v9
	;;#ASMEND
	ds_read_b128 v[72:75], v43 offset:16
	ds_read_b128 v[76:79], v42 offset:656
	ds_read_b128 v[80:83], v43 offset:4624
	s_waitcnt lgkmcnt(1)
	;;#ASMSTART
	v_dot2_f32_f16 v8, v72, v76, v8
	;;#ASMEND
	;;#ASMSTART
	v_dot2_f32_f16 v8, v73, v77, v8
	;;#ASMEND
	;;#ASMSTART
	v_dot2_f32_f16 v8, v74, v78, v8
	;;#ASMEND
	;;#ASMSTART
	v_dot2_f32_f16 v8, v75, v79, v8
	;;#ASMEND
	s_waitcnt lgkmcnt(0)
	;;#ASMSTART
	v_dot2_f32_f16 v9, v80, v76, v9
	;;#ASMEND
	;;#ASMSTART
	v_dot2_f32_f16 v9, v81, v77, v9
	;;#ASMEND
	;;#ASMSTART
	v_dot2_f32_f16 v9, v82, v78, v9
	;;#ASMEND
	;;#ASMSTART
	v_dot2_f32_f16 v9, v83, v79, v9
	;;#ASMEND
	ds_read_b128 v[72:75], v43 offset:32
	ds_read_b128 v[76:79], v42 offset:672
	ds_read_b128 v[80:83], v43 offset:4640
	s_waitcnt lgkmcnt(1)
	;;#ASMSTART
	v_dot2_f32_f16 v8, v72, v76, v8
	;;#ASMEND
	;;#ASMSTART
	v_dot2_f32_f16 v8, v73, v77, v8
	;;#ASMEND
	;;#ASMSTART
	v_dot2_f32_f16 v8, v74, v78, v8
	;;#ASMEND
	;;#ASMSTART
	v_dot2_f32_f16 v8, v75, v79, v8
	;;#ASMEND
	s_waitcnt lgkmcnt(0)
	;;#ASMSTART
	v_dot2_f32_f16 v9, v80, v76, v9
	;;#ASMEND
	;;#ASMSTART
	v_dot2_f32_f16 v9, v81, v77, v9
	;;#ASMEND
	;;#ASMSTART
	v_dot2_f32_f16 v9, v82, v78, v9
	;;#ASMEND
	;;#ASMSTART
	v_dot2_f32_f16 v9, v83, v79, v9
	;;#ASMEND
	ds_read_b128 v[72:75], v43 offset:48
	ds_read_b128 v[76:79], v42 offset:688
	ds_read_b128 v[80:83], v43 offset:4656
	s_waitcnt lgkmcnt(1)
	;;#ASMSTART
	v_dot2_f32_f16 v8, v72, v76, v8
	;;#ASMEND
	;;#ASMSTART
	v_dot2_f32_f16 v8, v73, v77, v8
	;;#ASMEND
	;;#ASMSTART
	v_dot2_f32_f16 v8, v74, v78, v8
	;;#ASMEND
	;;#ASMSTART
	v_dot2_f32_f16 v8, v75, v79, v8
	;;#ASMEND
	s_waitcnt lgkmcnt(0)
	;;#ASMSTART
	v_dot2_f32_f16 v9, v80, v76, v9
	;;#ASMEND
	;;#ASMSTART
	v_dot2_f32_f16 v9, v81, v77, v9
	;;#ASMEND
	;;#ASMSTART
	v_dot2_f32_f16 v9, v82, v78, v9
	;;#ASMEND
	;;#ASMSTART
	v_dot2_f32_f16 v9, v83, v79, v9
	;;#ASMEND
	ds_read_b128 v[72:75], v43 offset:64
	ds_read_b128 v[76:79], v42 offset:704
	ds_read_b128 v[80:83], v43 offset:4672
	s_waitcnt lgkmcnt(1)
	;;#ASMSTART
	v_dot2_f32_f16 v8, v72, v76, v8
	;;#ASMEND
	;;#ASMSTART
	v_dot2_f32_f16 v8, v73, v77, v8
	;;#ASMEND
	;;#ASMSTART
	v_dot2_f32_f16 v8, v74, v78, v8
	;;#ASMEND
	;;#ASMSTART
	v_dot2_f32_f16 v8, v75, v79, v8
	;;#ASMEND
	s_waitcnt lgkmcnt(0)
	;;#ASMSTART
	v_dot2_f32_f16 v9, v80, v76, v9
	;;#ASMEND
	;;#ASMSTART
	v_dot2_f32_f16 v9, v81, v77, v9
	;;#ASMEND
	;;#ASMSTART
	v_dot2_f32_f16 v9, v82, v78, v9
	;;#ASMEND
	;;#ASMSTART
	v_dot2_f32_f16 v9, v83, v79, v9
	;;#ASMEND
	ds_read_b128 v[72:75], v43 offset:80
	ds_read_b128 v[76:79], v42 offset:720
	ds_read_b128 v[80:83], v43 offset:4688
	s_waitcnt lgkmcnt(1)
	;;#ASMSTART
	v_dot2_f32_f16 v8, v72, v76, v8
	;;#ASMEND
	;;#ASMSTART
	v_dot2_f32_f16 v8, v73, v77, v8
	;;#ASMEND
	;;#ASMSTART
	v_dot2_f32_f16 v8, v74, v78, v8
	;;#ASMEND
	;;#ASMSTART
	v_dot2_f32_f16 v8, v75, v79, v8
	;;#ASMEND
	s_waitcnt lgkmcnt(0)
	;;#ASMSTART
	v_dot2_f32_f16 v9, v80, v76, v9
	;;#ASMEND
	;;#ASMSTART
	v_dot2_f32_f16 v9, v81, v77, v9
	;;#ASMEND
	;;#ASMSTART
	v_dot2_f32_f16 v9, v82, v78, v9
	;;#ASMEND
	;;#ASMSTART
	v_dot2_f32_f16 v9, v83, v79, v9
	;;#ASMEND
	ds_read_b128 v[72:75], v43 offset:96
	ds_read_b128 v[76:79], v42 offset:736
	ds_read_b128 v[80:83], v43 offset:4704
	s_waitcnt lgkmcnt(1)
	;;#ASMSTART
	v_dot2_f32_f16 v8, v72, v76, v8
	;;#ASMEND
	;;#ASMSTART
	v_dot2_f32_f16 v8, v73, v77, v8
	;;#ASMEND
	;;#ASMSTART
	v_dot2_f32_f16 v8, v74, v78, v8
	;;#ASMEND
	;;#ASMSTART
	v_dot2_f32_f16 v8, v75, v79, v8
	;;#ASMEND
	s_waitcnt lgkmcnt(0)
	;;#ASMSTART
	v_dot2_f32_f16 v9, v80, v76, v9
	;;#ASMEND
	;;#ASMSTART
	v_dot2_f32_f16 v9, v81, v77, v9
	;;#ASMEND
	;;#ASMSTART
	v_dot2_f32_f16 v9, v82, v78, v9
	;;#ASMEND
	;;#ASMSTART
	v_dot2_f32_f16 v9, v83, v79, v9
	;;#ASMEND
	ds_read_b128 v[72:75], v43 offset:112
	ds_read_b128 v[76:79], v42 offset:752
	ds_read_b128 v[80:83], v43 offset:4720
	s_waitcnt lgkmcnt(1)
	;;#ASMSTART
	v_dot2_f32_f16 v8, v72, v76, v8
	;;#ASMEND
	;;#ASMSTART
	v_dot2_f32_f16 v8, v73, v77, v8
	;;#ASMEND
	;; [unrolled: 3-line block ×4, first 2 shown]
	s_waitcnt lgkmcnt(0)
	;;#ASMSTART
	v_dot2_f32_f16 v9, v80, v76, v9
	;;#ASMEND
	;;#ASMSTART
	v_dot2_f32_f16 v9, v81, v77, v9
	;;#ASMEND
	;; [unrolled: 3-line block ×4, first 2 shown]
	s_barrier
	global_load_dwordx4 v[72:75], v[30:31], off offset:768
	global_load_dwordx4 v[76:79], v[28:29], off offset:768
	s_waitcnt vmcnt(1)
	ds_write_b128 v40, v[72:75]
	s_waitcnt vmcnt(0)
	ds_write_b128 v41, v[76:79]
	s_waitcnt lgkmcnt(0)
	s_barrier
	ds_read_b128 v[72:75], v43
	ds_read_b128 v[76:79], v42 offset:768
	ds_read_b128 v[80:83], v43 offset:4608
	s_waitcnt lgkmcnt(1)
	;;#ASMSTART
	v_dot2_f32_f16 v8, v72, v76, v8
	;;#ASMEND
	;;#ASMSTART
	v_dot2_f32_f16 v8, v73, v77, v8
	;;#ASMEND
	;;#ASMSTART
	v_dot2_f32_f16 v8, v74, v78, v8
	;;#ASMEND
	;;#ASMSTART
	v_dot2_f32_f16 v8, v75, v79, v8
	;;#ASMEND
	s_waitcnt lgkmcnt(0)
	;;#ASMSTART
	v_dot2_f32_f16 v9, v80, v76, v9
	;;#ASMEND
	;;#ASMSTART
	v_dot2_f32_f16 v9, v81, v77, v9
	;;#ASMEND
	;;#ASMSTART
	v_dot2_f32_f16 v9, v82, v78, v9
	;;#ASMEND
	;;#ASMSTART
	v_dot2_f32_f16 v9, v83, v79, v9
	;;#ASMEND
	ds_read_b128 v[72:75], v43 offset:16
	ds_read_b128 v[76:79], v42 offset:784
	ds_read_b128 v[80:83], v43 offset:4624
	s_waitcnt lgkmcnt(1)
	;;#ASMSTART
	v_dot2_f32_f16 v8, v72, v76, v8
	;;#ASMEND
	;;#ASMSTART
	v_dot2_f32_f16 v8, v73, v77, v8
	;;#ASMEND
	;;#ASMSTART
	v_dot2_f32_f16 v8, v74, v78, v8
	;;#ASMEND
	;;#ASMSTART
	v_dot2_f32_f16 v8, v75, v79, v8
	;;#ASMEND
	s_waitcnt lgkmcnt(0)
	;;#ASMSTART
	v_dot2_f32_f16 v9, v80, v76, v9
	;;#ASMEND
	;;#ASMSTART
	v_dot2_f32_f16 v9, v81, v77, v9
	;;#ASMEND
	;;#ASMSTART
	v_dot2_f32_f16 v9, v82, v78, v9
	;;#ASMEND
	;;#ASMSTART
	v_dot2_f32_f16 v9, v83, v79, v9
	;;#ASMEND
	ds_read_b128 v[72:75], v43 offset:32
	;; [unrolled: 29-line block ×7, first 2 shown]
	ds_read_b128 v[76:79], v42 offset:880
	ds_read_b128 v[80:83], v43 offset:4720
	s_waitcnt lgkmcnt(1)
	;;#ASMSTART
	v_dot2_f32_f16 v8, v72, v76, v8
	;;#ASMEND
	;;#ASMSTART
	v_dot2_f32_f16 v8, v73, v77, v8
	;;#ASMEND
	;;#ASMSTART
	v_dot2_f32_f16 v8, v74, v78, v8
	;;#ASMEND
	;;#ASMSTART
	v_dot2_f32_f16 v8, v75, v79, v8
	;;#ASMEND
	s_waitcnt lgkmcnt(0)
	;;#ASMSTART
	v_dot2_f32_f16 v9, v80, v76, v9
	;;#ASMEND
	;;#ASMSTART
	v_dot2_f32_f16 v9, v81, v77, v9
	;;#ASMEND
	;; [unrolled: 3-line block ×4, first 2 shown]
	s_barrier
	global_load_dwordx4 v[72:75], v[30:31], off offset:896
	global_load_dwordx4 v[76:79], v[28:29], off offset:896
	s_waitcnt vmcnt(1)
	ds_write_b128 v40, v[72:75]
	s_waitcnt vmcnt(0)
	ds_write_b128 v41, v[76:79]
	s_waitcnt lgkmcnt(0)
	s_barrier
	ds_read_b128 v[28:31], v43
	ds_read_b128 v[72:75], v42 offset:896
	ds_read_b128 v[76:79], v43 offset:4608
	s_waitcnt lgkmcnt(1)
	;;#ASMSTART
	v_dot2_f32_f16 v8, v28, v72, v8
	;;#ASMEND
	;;#ASMSTART
	v_dot2_f32_f16 v8, v29, v73, v8
	;;#ASMEND
	;;#ASMSTART
	v_dot2_f32_f16 v8, v30, v74, v8
	;;#ASMEND
	;;#ASMSTART
	v_dot2_f32_f16 v8, v31, v75, v8
	;;#ASMEND
	s_waitcnt lgkmcnt(0)
	;;#ASMSTART
	v_dot2_f32_f16 v9, v76, v72, v9
	;;#ASMEND
	;;#ASMSTART
	v_dot2_f32_f16 v9, v77, v73, v9
	;;#ASMEND
	;;#ASMSTART
	v_dot2_f32_f16 v9, v78, v74, v9
	;;#ASMEND
	;;#ASMSTART
	v_dot2_f32_f16 v9, v79, v75, v9
	;;#ASMEND
	ds_read_b128 v[28:31], v43 offset:16
	ds_read_b128 v[72:75], v42 offset:912
	ds_read_b128 v[76:79], v43 offset:4624
	s_waitcnt lgkmcnt(1)
	;;#ASMSTART
	v_dot2_f32_f16 v8, v28, v72, v8
	;;#ASMEND
	;;#ASMSTART
	v_dot2_f32_f16 v8, v29, v73, v8
	;;#ASMEND
	;;#ASMSTART
	v_dot2_f32_f16 v8, v30, v74, v8
	;;#ASMEND
	;;#ASMSTART
	v_dot2_f32_f16 v8, v31, v75, v8
	;;#ASMEND
	s_waitcnt lgkmcnt(0)
	;;#ASMSTART
	v_dot2_f32_f16 v9, v76, v72, v9
	;;#ASMEND
	;;#ASMSTART
	v_dot2_f32_f16 v9, v77, v73, v9
	;;#ASMEND
	;;#ASMSTART
	v_dot2_f32_f16 v9, v78, v74, v9
	;;#ASMEND
	;;#ASMSTART
	v_dot2_f32_f16 v9, v79, v75, v9
	;;#ASMEND
	ds_read_b128 v[28:31], v43 offset:32
	;; [unrolled: 29-line block ×7, first 2 shown]
	ds_read_b128 v[72:75], v42 offset:1008
	ds_read_b128 v[76:79], v43 offset:4720
	s_waitcnt lgkmcnt(1)
	;;#ASMSTART
	v_dot2_f32_f16 v8, v28, v72, v8
	;;#ASMEND
	;;#ASMSTART
	v_dot2_f32_f16 v8, v29, v73, v8
	;;#ASMEND
	;; [unrolled: 3-line block ×4, first 2 shown]
	s_waitcnt lgkmcnt(0)
	;;#ASMSTART
	v_dot2_f32_f16 v9, v76, v72, v9
	;;#ASMEND
	;;#ASMSTART
	v_dot2_f32_f16 v9, v77, v73, v9
	;;#ASMEND
	;; [unrolled: 3-line block ×4, first 2 shown]
	flat_load_ushort v76, v[10:11] offset:64
	flat_load_ushort v77, v[10:11]
	s_waitcnt lgkmcnt(0)
	s_barrier
	global_load_dwordx4 v[28:31], v[26:27], off
	global_load_dwordx4 v[72:75], v[26:27], off offset:512
	s_waitcnt vmcnt(0)
	v_cvt_f32_f16_e32 v11, v76
	v_cvt_f32_f16_e32 v10, v77
	v_pk_add_f32 v[10:11], v[8:9], v[10:11]
	v_add_f32_e32 v8, 0x40051340, v10
	v_add_f32_e32 v9, 0x40051340, v11
	v_max3_f32 v8, v65, v8, v9
	ds_bpermute_b32 v9, v71, v8
	s_waitcnt lgkmcnt(0)
	v_max_f32_e32 v9, v9, v9
	v_max_f32_e32 v8, v8, v9
	ds_bpermute_b32 v9, v70, v8
	s_waitcnt lgkmcnt(0)
	v_max_f32_e32 v9, v9, v9
	v_max_f32_e32 v8, v8, v9
	;; [unrolled: 4-line block ×5, first 2 shown]
	v_sub_f32_e32 v9, v65, v8
	v_pk_add_f32 v[10:11], v[10:11], v[8:9] op_sel_hi:[1,0] neg_lo:[0,1] neg_hi:[0,1]
	v_mul_f32_e32 v27, 0x3fb8aa3b, v10
	v_mul_f32_e32 v26, 0x3fb8aa3b, v11
	v_fma_f32 v69, v10, s31, -v27
	v_rndne_f32_e32 v70, v27
	v_mul_f32_e32 v65, 0x3fb8aa3b, v9
	v_fma_f32 v67, v11, s31, -v26
	v_rndne_f32_e32 v68, v26
	v_fmac_f32_e32 v69, 0x32a5705f, v10
	v_sub_f32_e32 v27, v27, v70
	v_fma_f32 v71, v9, s31, -v65
	v_rndne_f32_e32 v76, v65
	v_fmac_f32_e32 v67, 0x32a5705f, v11
	v_sub_f32_e32 v26, v26, v68
	v_add_f32_e32 v27, v27, v69
	v_cvt_i32_f32_e32 v70, v70
	v_fmac_f32_e32 v71, 0x32a5705f, v9
	v_sub_f32_e32 v65, v65, v76
	v_add_f32_e32 v26, v26, v67
	v_exp_f32_e32 v27, v27
	v_cvt_i32_f32_e32 v68, v68
	v_add_f32_e32 v65, v65, v71
	v_exp_f32_e32 v26, v26
	v_cvt_i32_f32_e32 v76, v76
	v_exp_f32_e32 v65, v65
	v_ldexp_f32 v27, v27, v70
	v_cmp_ngt_f32_e32 vcc, s36, v10
	v_ldexp_f32 v26, v26, v68
	v_cmp_ngt_f32_e64 s[2:3], s36, v11
	v_cndmask_b32_e32 v27, 0, v27, vcc
	v_cmp_nlt_f32_e32 vcc, s37, v10
	v_ldexp_f32 v65, v65, v76
	v_cmp_ngt_f32_e64 s[0:1], s36, v9
	v_cndmask_b32_e64 v26, 0, v26, s[2:3]
	v_cmp_nlt_f32_e64 s[2:3], s37, v11
	v_cndmask_b32_e32 v11, v53, v27, vcc
	v_cndmask_b32_e64 v10, 0, v65, s[0:1]
	v_cmp_nlt_f32_e64 s[0:1], s37, v9
	v_cndmask_b32_e64 v9, v53, v26, s[2:3]
	v_cvt_f16_f32_e32 v27, v11
	v_cndmask_b32_e64 v26, v53, v10, s[0:1]
	v_add_f32_e32 v10, v11, v9
	v_cvt_f16_f32_e32 v9, v9
	v_cvt_f16_f32_e32 v11, v26
	v_fmac_f32_e32 v10, v66, v26
	ds_write_b16 v45, v27
	ds_write_b16 v45, v9 offset:64
	ds_write_b128 v46, v[28:31]
	ds_write_b128 v47, v[72:75]
	s_waitcnt lgkmcnt(0)
	s_barrier
	ds_read2_b64 v[26:29], v48 offset1:32
	ds_read2_b64 v[66:69], v48 offset0:64 offset1:96
	ds_read_b128 v[70:73], v44
	ds_read2_b64 v[74:77], v48 offset0:128 offset1:160
	ds_read2_b64 v[78:81], v48 offset0:192 offset1:224
	ds_read2_b64 v[82:85], v54 offset1:32
	ds_read2_b64 v[86:89], v54 offset0:64 offset1:96
	ds_read2_b64 v[90:93], v54 offset0:128 offset1:160
	ds_read2_b64 v[94:97], v54 offset0:192 offset1:224
	ds_read2_b64 v[98:101], v55 offset1:32
	ds_read2_b64 v[102:105], v55 offset0:64 offset1:96
	;; [unrolled: 4-line block ×3, first 2 shown]
	ds_read2_b64 v[122:125], v56 offset0:128 offset1:160
	ds_read2_b64 v[126:129], v56 offset0:192 offset1:224
	s_waitcnt lgkmcnt(0)
	s_barrier
	global_load_dwordx4 v[130:133], v[24:25], off
	global_load_dwordx4 v[134:137], v[24:25], off offset:512
	v_pk_mul_f16 v9, v11, v62 op_sel_hi:[0,1]
	v_pk_mul_f16 v24, v11, v61 op_sel_hi:[0,1]
	;; [unrolled: 1-line block ×8, first 2 shown]
	v_pk_fma_f16 v9, v28, v70, v9 op_sel_hi:[1,0,1]
	v_pk_fma_f16 v24, v29, v70, v24 op_sel_hi:[1,0,1]
	v_pk_fma_f16 v25, v66, v70, v25 op_sel_hi:[1,0,1]
	v_pk_fma_f16 v28, v67, v70, v30 op_sel_hi:[1,0,1]
	v_pk_fma_f16 v29, v68, v70, v31 op_sel_hi:[1,0,1]
	v_pk_fma_f16 v30, v69, v70, v57 op_sel_hi:[1,0,1]
	v_pk_fma_f16 v26, v64, v11, v26 op_sel_hi:[1,0,1]
	v_pk_fma_f16 v11, v63, v11, v27 op_sel_hi:[1,0,1]
	v_pk_fma_f16 v9, v76, v70, v9 op_sel:[0,1,0]
	v_pk_fma_f16 v24, v77, v70, v24 op_sel:[0,1,0]
	v_pk_fma_f16 v25, v78, v70, v25 op_sel:[0,1,0]
	v_pk_fma_f16 v27, v79, v70, v28 op_sel:[0,1,0]
	v_pk_fma_f16 v28, v80, v70, v29 op_sel:[0,1,0]
	v_pk_fma_f16 v29, v81, v70, v30 op_sel:[0,1,0]
	v_pk_fma_f16 v26, v74, v70, v26 op_sel:[0,1,0]
	v_pk_fma_f16 v11, v75, v70, v11 op_sel:[0,1,0]
	v_pk_fma_f16 v9, v84, v71, v9 op_sel_hi:[1,0,1]
	v_pk_fma_f16 v24, v85, v71, v24 op_sel_hi:[1,0,1]
	v_pk_fma_f16 v25, v86, v71, v25 op_sel_hi:[1,0,1]
	v_pk_fma_f16 v27, v87, v71, v27 op_sel_hi:[1,0,1]
	v_pk_fma_f16 v28, v88, v71, v28 op_sel_hi:[1,0,1]
	v_pk_fma_f16 v29, v89, v71, v29 op_sel_hi:[1,0,1]
	v_pk_fma_f16 v26, v82, v71, v26 op_sel_hi:[1,0,1]
	v_pk_fma_f16 v11, v83, v71, v11 op_sel_hi:[1,0,1]
	v_pk_fma_f16 v9, v92, v71, v9 op_sel:[0,1,0]
	v_pk_fma_f16 v24, v93, v71, v24 op_sel:[0,1,0]
	v_pk_fma_f16 v25, v94, v71, v25 op_sel:[0,1,0]
	v_pk_fma_f16 v27, v95, v71, v27 op_sel:[0,1,0]
	v_pk_fma_f16 v28, v96, v71, v28 op_sel:[0,1,0]
	v_pk_fma_f16 v29, v97, v71, v29 op_sel:[0,1,0]
	v_pk_fma_f16 v26, v90, v71, v26 op_sel:[0,1,0]
	v_pk_fma_f16 v11, v91, v71, v11 op_sel:[0,1,0]
	;; [unrolled: 16-line block ×4, first 2 shown]
	s_waitcnt vmcnt(1)
	ds_write_b128 v46, v[130:133]
	s_waitcnt vmcnt(0)
	ds_write_b128 v47, v[134:137]
	s_waitcnt lgkmcnt(0)
	s_barrier
	ds_read2_b64 v[24:27], v48 offset1:32
	ds_read2_b64 v[28:31], v48 offset0:64 offset1:96
	ds_read_b128 v[58:61], v44 offset:16
	ds_read2_b64 v[62:65], v48 offset0:128 offset1:160
	ds_read2_b64 v[66:69], v48 offset0:192 offset1:224
	ds_read2_b64 v[70:73], v54 offset1:32
	ds_read2_b64 v[74:77], v54 offset0:64 offset1:96
	ds_read2_b64 v[78:81], v54 offset0:128 offset1:160
	ds_read2_b64 v[82:85], v54 offset0:192 offset1:224
	ds_read2_b64 v[86:89], v55 offset1:32
	ds_read2_b64 v[90:93], v55 offset0:64 offset1:96
	ds_read2_b64 v[94:97], v55 offset0:128 offset1:160
	ds_read2_b64 v[98:101], v55 offset0:192 offset1:224
	ds_read2_b64 v[102:105], v56 offset1:32
	ds_read2_b64 v[106:109], v56 offset0:64 offset1:96
	ds_read2_b64 v[110:113], v56 offset0:128 offset1:160
	ds_read2_b64 v[114:117], v56 offset0:192 offset1:224
	s_waitcnt lgkmcnt(0)
	s_barrier
	global_load_dwordx4 v[118:121], v[22:23], off
	global_load_dwordx4 v[122:125], v[22:23], off offset:512
	v_pk_fma_f16 v22, v24, v58, v138 op_sel_hi:[1,0,1]
	v_pk_fma_f16 v11, v25, v58, v11 op_sel_hi:[1,0,1]
	v_pk_fma_f16 v9, v26, v58, v9 op_sel_hi:[1,0,1]
	v_pk_fma_f16 v23, v27, v58, v57 op_sel_hi:[1,0,1]
	v_pk_fma_f16 v24, v28, v58, v126 op_sel_hi:[1,0,1]
	v_pk_fma_f16 v25, v29, v58, v127 op_sel_hi:[1,0,1]
	v_pk_fma_f16 v26, v30, v58, v128 op_sel_hi:[1,0,1]
	v_pk_fma_f16 v27, v31, v58, v129 op_sel_hi:[1,0,1]
	v_pk_fma_f16 v22, v62, v58, v22 op_sel:[0,1,0]
	v_pk_fma_f16 v11, v63, v58, v11 op_sel:[0,1,0]
	v_pk_fma_f16 v9, v64, v58, v9 op_sel:[0,1,0]
	v_pk_fma_f16 v23, v65, v58, v23 op_sel:[0,1,0]
	v_pk_fma_f16 v24, v66, v58, v24 op_sel:[0,1,0]
	v_pk_fma_f16 v25, v67, v58, v25 op_sel:[0,1,0]
	v_pk_fma_f16 v26, v68, v58, v26 op_sel:[0,1,0]
	v_pk_fma_f16 v27, v69, v58, v27 op_sel:[0,1,0]
	v_pk_fma_f16 v22, v70, v59, v22 op_sel_hi:[1,0,1]
	v_pk_fma_f16 v11, v71, v59, v11 op_sel_hi:[1,0,1]
	v_pk_fma_f16 v9, v72, v59, v9 op_sel_hi:[1,0,1]
	v_pk_fma_f16 v23, v73, v59, v23 op_sel_hi:[1,0,1]
	v_pk_fma_f16 v24, v74, v59, v24 op_sel_hi:[1,0,1]
	v_pk_fma_f16 v25, v75, v59, v25 op_sel_hi:[1,0,1]
	v_pk_fma_f16 v26, v76, v59, v26 op_sel_hi:[1,0,1]
	v_pk_fma_f16 v27, v77, v59, v27 op_sel_hi:[1,0,1]
	v_pk_fma_f16 v22, v78, v59, v22 op_sel:[0,1,0]
	v_pk_fma_f16 v11, v79, v59, v11 op_sel:[0,1,0]
	v_pk_fma_f16 v9, v80, v59, v9 op_sel:[0,1,0]
	v_pk_fma_f16 v23, v81, v59, v23 op_sel:[0,1,0]
	v_pk_fma_f16 v24, v82, v59, v24 op_sel:[0,1,0]
	v_pk_fma_f16 v25, v83, v59, v25 op_sel:[0,1,0]
	v_pk_fma_f16 v26, v84, v59, v26 op_sel:[0,1,0]
	v_pk_fma_f16 v27, v85, v59, v27 op_sel:[0,1,0]
	;; [unrolled: 16-line block ×4, first 2 shown]
	s_waitcnt vmcnt(1)
	ds_write_b128 v46, v[118:121]
	s_waitcnt vmcnt(0)
	ds_write_b128 v47, v[122:125]
	s_waitcnt lgkmcnt(0)
	s_barrier
	ds_read2_b64 v[22:25], v48 offset1:32
	ds_read2_b64 v[26:29], v48 offset0:64 offset1:96
	ds_read_b128 v[58:61], v44 offset:32
	ds_read2_b64 v[62:65], v48 offset0:128 offset1:160
	ds_read2_b64 v[66:69], v48 offset0:192 offset1:224
	ds_read2_b64 v[70:73], v54 offset1:32
	ds_read2_b64 v[74:77], v54 offset0:64 offset1:96
	ds_read2_b64 v[78:81], v54 offset0:128 offset1:160
	ds_read2_b64 v[82:85], v54 offset0:192 offset1:224
	ds_read2_b64 v[86:89], v55 offset1:32
	ds_read2_b64 v[90:93], v55 offset0:64 offset1:96
	;; [unrolled: 4-line block ×3, first 2 shown]
	ds_read2_b64 v[110:113], v56 offset0:128 offset1:160
	ds_read2_b64 v[114:117], v56 offset0:192 offset1:224
	s_waitcnt lgkmcnt(0)
	s_barrier
	global_load_dwordx4 v[118:121], v[20:21], off
	global_load_dwordx4 v[122:125], v[20:21], off offset:512
	v_pk_fma_f16 v20, v22, v58, v30 op_sel_hi:[1,0,1]
	v_pk_fma_f16 v11, v23, v58, v11 op_sel_hi:[1,0,1]
	v_pk_fma_f16 v9, v24, v58, v9 op_sel_hi:[1,0,1]
	v_pk_fma_f16 v21, v25, v58, v31 op_sel_hi:[1,0,1]
	v_pk_fma_f16 v22, v26, v58, v57 op_sel_hi:[1,0,1]
	v_pk_fma_f16 v23, v27, v58, v126 op_sel_hi:[1,0,1]
	v_pk_fma_f16 v24, v28, v58, v127 op_sel_hi:[1,0,1]
	v_pk_fma_f16 v25, v29, v58, v128 op_sel_hi:[1,0,1]
	v_pk_fma_f16 v20, v62, v58, v20 op_sel:[0,1,0]
	v_pk_fma_f16 v11, v63, v58, v11 op_sel:[0,1,0]
	v_pk_fma_f16 v9, v64, v58, v9 op_sel:[0,1,0]
	v_pk_fma_f16 v21, v65, v58, v21 op_sel:[0,1,0]
	v_pk_fma_f16 v22, v66, v58, v22 op_sel:[0,1,0]
	v_pk_fma_f16 v23, v67, v58, v23 op_sel:[0,1,0]
	v_pk_fma_f16 v24, v68, v58, v24 op_sel:[0,1,0]
	v_pk_fma_f16 v25, v69, v58, v25 op_sel:[0,1,0]
	v_pk_fma_f16 v20, v70, v59, v20 op_sel_hi:[1,0,1]
	v_pk_fma_f16 v11, v71, v59, v11 op_sel_hi:[1,0,1]
	v_pk_fma_f16 v9, v72, v59, v9 op_sel_hi:[1,0,1]
	v_pk_fma_f16 v21, v73, v59, v21 op_sel_hi:[1,0,1]
	v_pk_fma_f16 v22, v74, v59, v22 op_sel_hi:[1,0,1]
	v_pk_fma_f16 v23, v75, v59, v23 op_sel_hi:[1,0,1]
	v_pk_fma_f16 v24, v76, v59, v24 op_sel_hi:[1,0,1]
	v_pk_fma_f16 v25, v77, v59, v25 op_sel_hi:[1,0,1]
	v_pk_fma_f16 v20, v78, v59, v20 op_sel:[0,1,0]
	v_pk_fma_f16 v11, v79, v59, v11 op_sel:[0,1,0]
	v_pk_fma_f16 v9, v80, v59, v9 op_sel:[0,1,0]
	v_pk_fma_f16 v21, v81, v59, v21 op_sel:[0,1,0]
	v_pk_fma_f16 v22, v82, v59, v22 op_sel:[0,1,0]
	v_pk_fma_f16 v23, v83, v59, v23 op_sel:[0,1,0]
	v_pk_fma_f16 v24, v84, v59, v24 op_sel:[0,1,0]
	v_pk_fma_f16 v25, v85, v59, v25 op_sel:[0,1,0]
	;; [unrolled: 16-line block ×4, first 2 shown]
	s_waitcnt vmcnt(1)
	ds_write_b128 v46, v[118:121]
	s_waitcnt vmcnt(0)
	ds_write_b128 v47, v[122:125]
	s_waitcnt lgkmcnt(0)
	s_barrier
	ds_read2_b64 v[20:23], v48 offset1:32
	ds_read2_b64 v[24:27], v48 offset0:64 offset1:96
	ds_read_b128 v[28:31], v44 offset:48
	ds_read2_b64 v[58:61], v48 offset0:128 offset1:160
	ds_read2_b64 v[62:65], v48 offset0:192 offset1:224
	ds_read2_b64 v[66:69], v54 offset1:32
	ds_read2_b64 v[70:73], v54 offset0:64 offset1:96
	ds_read2_b64 v[74:77], v54 offset0:128 offset1:160
	ds_read2_b64 v[78:81], v54 offset0:192 offset1:224
	ds_read2_b64 v[82:85], v55 offset1:32
	ds_read2_b64 v[86:89], v55 offset0:64 offset1:96
	ds_read2_b64 v[90:93], v55 offset0:128 offset1:160
	ds_read2_b64 v[94:97], v55 offset0:192 offset1:224
	ds_read2_b64 v[98:101], v56 offset1:32
	ds_read2_b64 v[102:105], v56 offset0:64 offset1:96
	ds_read2_b64 v[106:109], v56 offset0:128 offset1:160
	ds_read2_b64 v[110:113], v56 offset0:192 offset1:224
	s_waitcnt lgkmcnt(0)
	s_barrier
	global_load_dwordx4 v[114:117], v[18:19], off
	global_load_dwordx4 v[118:121], v[18:19], off offset:512
	v_pk_fma_f16 v18, v20, v28, v57 op_sel_hi:[1,0,1]
	v_pk_fma_f16 v11, v21, v28, v11 op_sel_hi:[1,0,1]
	v_pk_fma_f16 v9, v22, v28, v9 op_sel_hi:[1,0,1]
	v_pk_fma_f16 v19, v23, v28, v126 op_sel_hi:[1,0,1]
	v_pk_fma_f16 v20, v24, v28, v127 op_sel_hi:[1,0,1]
	v_pk_fma_f16 v21, v25, v28, v128 op_sel_hi:[1,0,1]
	v_pk_fma_f16 v22, v26, v28, v129 op_sel_hi:[1,0,1]
	v_pk_fma_f16 v23, v27, v28, v130 op_sel_hi:[1,0,1]
	v_pk_fma_f16 v18, v58, v28, v18 op_sel:[0,1,0]
	v_pk_fma_f16 v11, v59, v28, v11 op_sel:[0,1,0]
	v_pk_fma_f16 v9, v60, v28, v9 op_sel:[0,1,0]
	v_pk_fma_f16 v19, v61, v28, v19 op_sel:[0,1,0]
	v_pk_fma_f16 v20, v62, v28, v20 op_sel:[0,1,0]
	v_pk_fma_f16 v21, v63, v28, v21 op_sel:[0,1,0]
	v_pk_fma_f16 v22, v64, v28, v22 op_sel:[0,1,0]
	v_pk_fma_f16 v23, v65, v28, v23 op_sel:[0,1,0]
	v_pk_fma_f16 v18, v66, v29, v18 op_sel_hi:[1,0,1]
	v_pk_fma_f16 v11, v67, v29, v11 op_sel_hi:[1,0,1]
	v_pk_fma_f16 v9, v68, v29, v9 op_sel_hi:[1,0,1]
	v_pk_fma_f16 v19, v69, v29, v19 op_sel_hi:[1,0,1]
	v_pk_fma_f16 v20, v70, v29, v20 op_sel_hi:[1,0,1]
	v_pk_fma_f16 v21, v71, v29, v21 op_sel_hi:[1,0,1]
	v_pk_fma_f16 v22, v72, v29, v22 op_sel_hi:[1,0,1]
	v_pk_fma_f16 v23, v73, v29, v23 op_sel_hi:[1,0,1]
	v_pk_fma_f16 v18, v74, v29, v18 op_sel:[0,1,0]
	v_pk_fma_f16 v11, v75, v29, v11 op_sel:[0,1,0]
	v_pk_fma_f16 v9, v76, v29, v9 op_sel:[0,1,0]
	v_pk_fma_f16 v19, v77, v29, v19 op_sel:[0,1,0]
	v_pk_fma_f16 v20, v78, v29, v20 op_sel:[0,1,0]
	v_pk_fma_f16 v21, v79, v29, v21 op_sel:[0,1,0]
	v_pk_fma_f16 v22, v80, v29, v22 op_sel:[0,1,0]
	v_pk_fma_f16 v23, v81, v29, v23 op_sel:[0,1,0]
	;; [unrolled: 16-line block ×4, first 2 shown]
	s_waitcnt vmcnt(1)
	ds_write_b128 v46, v[114:117]
	s_waitcnt vmcnt(0)
	ds_write_b128 v47, v[118:121]
	s_waitcnt lgkmcnt(0)
	s_barrier
	ds_read2_b64 v[18:21], v48 offset1:32
	ds_read2_b64 v[22:25], v48 offset0:64 offset1:96
	ds_read_b128 v[26:29], v44 offset:64
	ds_read2_b64 v[58:61], v48 offset0:128 offset1:160
	ds_read2_b64 v[62:65], v48 offset0:192 offset1:224
	ds_read2_b64 v[66:69], v54 offset1:32
	ds_read2_b64 v[70:73], v54 offset0:64 offset1:96
	ds_read2_b64 v[74:77], v54 offset0:128 offset1:160
	ds_read2_b64 v[78:81], v54 offset0:192 offset1:224
	ds_read2_b64 v[82:85], v55 offset1:32
	ds_read2_b64 v[86:89], v55 offset0:64 offset1:96
	;; [unrolled: 4-line block ×3, first 2 shown]
	ds_read2_b64 v[106:109], v56 offset0:128 offset1:160
	ds_read2_b64 v[110:113], v56 offset0:192 offset1:224
	s_waitcnt lgkmcnt(0)
	s_barrier
	global_load_dwordx4 v[114:117], v[16:17], off
	global_load_dwordx4 v[118:121], v[16:17], off offset:512
	v_pk_fma_f16 v16, v18, v26, v30 op_sel_hi:[1,0,1]
	v_pk_fma_f16 v11, v19, v26, v11 op_sel_hi:[1,0,1]
	v_pk_fma_f16 v9, v20, v26, v9 op_sel_hi:[1,0,1]
	v_pk_fma_f16 v17, v21, v26, v57 op_sel_hi:[1,0,1]
	v_pk_fma_f16 v18, v22, v26, v122 op_sel_hi:[1,0,1]
	v_pk_fma_f16 v19, v23, v26, v123 op_sel_hi:[1,0,1]
	v_pk_fma_f16 v20, v24, v26, v124 op_sel_hi:[1,0,1]
	v_pk_fma_f16 v21, v25, v26, v31 op_sel_hi:[1,0,1]
	v_pk_fma_f16 v16, v58, v26, v16 op_sel:[0,1,0]
	v_pk_fma_f16 v11, v59, v26, v11 op_sel:[0,1,0]
	v_pk_fma_f16 v9, v60, v26, v9 op_sel:[0,1,0]
	v_pk_fma_f16 v17, v61, v26, v17 op_sel:[0,1,0]
	v_pk_fma_f16 v18, v62, v26, v18 op_sel:[0,1,0]
	v_pk_fma_f16 v19, v63, v26, v19 op_sel:[0,1,0]
	v_pk_fma_f16 v20, v64, v26, v20 op_sel:[0,1,0]
	v_pk_fma_f16 v21, v65, v26, v21 op_sel:[0,1,0]
	v_pk_fma_f16 v16, v66, v27, v16 op_sel_hi:[1,0,1]
	v_pk_fma_f16 v11, v67, v27, v11 op_sel_hi:[1,0,1]
	v_pk_fma_f16 v9, v68, v27, v9 op_sel_hi:[1,0,1]
	v_pk_fma_f16 v17, v69, v27, v17 op_sel_hi:[1,0,1]
	v_pk_fma_f16 v18, v70, v27, v18 op_sel_hi:[1,0,1]
	v_pk_fma_f16 v19, v71, v27, v19 op_sel_hi:[1,0,1]
	v_pk_fma_f16 v20, v72, v27, v20 op_sel_hi:[1,0,1]
	v_pk_fma_f16 v21, v73, v27, v21 op_sel_hi:[1,0,1]
	v_pk_fma_f16 v16, v74, v27, v16 op_sel:[0,1,0]
	v_pk_fma_f16 v11, v75, v27, v11 op_sel:[0,1,0]
	v_pk_fma_f16 v9, v76, v27, v9 op_sel:[0,1,0]
	v_pk_fma_f16 v17, v77, v27, v17 op_sel:[0,1,0]
	v_pk_fma_f16 v18, v78, v27, v18 op_sel:[0,1,0]
	v_pk_fma_f16 v19, v79, v27, v19 op_sel:[0,1,0]
	v_pk_fma_f16 v20, v80, v27, v20 op_sel:[0,1,0]
	v_pk_fma_f16 v21, v81, v27, v21 op_sel:[0,1,0]
	;; [unrolled: 16-line block ×4, first 2 shown]
	s_waitcnt vmcnt(1)
	ds_write_b128 v46, v[114:117]
	s_waitcnt vmcnt(0)
	ds_write_b128 v47, v[118:121]
	s_waitcnt lgkmcnt(0)
	s_barrier
	ds_read2_b64 v[16:19], v48 offset1:32
	ds_read2_b64 v[20:23], v48 offset0:64 offset1:96
	ds_read_b128 v[24:27], v44 offset:80
	ds_read2_b64 v[28:31], v48 offset0:128 offset1:160
	ds_read2_b64 v[58:61], v48 offset0:192 offset1:224
	ds_read2_b64 v[62:65], v54 offset1:32
	ds_read2_b64 v[66:69], v54 offset0:64 offset1:96
	ds_read2_b64 v[70:73], v54 offset0:128 offset1:160
	ds_read2_b64 v[74:77], v54 offset0:192 offset1:224
	ds_read2_b64 v[78:81], v55 offset1:32
	ds_read2_b64 v[82:85], v55 offset0:64 offset1:96
	;; [unrolled: 4-line block ×3, first 2 shown]
	ds_read2_b64 v[102:105], v56 offset0:128 offset1:160
	ds_read2_b64 v[106:109], v56 offset0:192 offset1:224
	s_waitcnt lgkmcnt(0)
	s_barrier
	global_load_dwordx4 v[110:113], v[14:15], off
	global_load_dwordx4 v[114:117], v[14:15], off offset:512
	v_pk_fma_f16 v14, v16, v24, v57 op_sel_hi:[1,0,1]
	v_pk_fma_f16 v11, v17, v24, v11 op_sel_hi:[1,0,1]
	v_pk_fma_f16 v9, v18, v24, v9 op_sel_hi:[1,0,1]
	v_pk_fma_f16 v15, v19, v24, v122 op_sel_hi:[1,0,1]
	v_pk_fma_f16 v16, v20, v24, v123 op_sel_hi:[1,0,1]
	v_pk_fma_f16 v17, v21, v24, v124 op_sel_hi:[1,0,1]
	v_pk_fma_f16 v18, v22, v24, v125 op_sel_hi:[1,0,1]
	v_pk_fma_f16 v19, v23, v24, v126 op_sel_hi:[1,0,1]
	v_pk_fma_f16 v14, v28, v24, v14 op_sel:[0,1,0]
	v_pk_fma_f16 v11, v29, v24, v11 op_sel:[0,1,0]
	v_pk_fma_f16 v9, v30, v24, v9 op_sel:[0,1,0]
	v_pk_fma_f16 v15, v31, v24, v15 op_sel:[0,1,0]
	v_pk_fma_f16 v16, v58, v24, v16 op_sel:[0,1,0]
	v_pk_fma_f16 v17, v59, v24, v17 op_sel:[0,1,0]
	v_pk_fma_f16 v18, v60, v24, v18 op_sel:[0,1,0]
	v_pk_fma_f16 v19, v61, v24, v19 op_sel:[0,1,0]
	v_pk_fma_f16 v14, v62, v25, v14 op_sel_hi:[1,0,1]
	v_pk_fma_f16 v11, v63, v25, v11 op_sel_hi:[1,0,1]
	v_pk_fma_f16 v9, v64, v25, v9 op_sel_hi:[1,0,1]
	v_pk_fma_f16 v15, v65, v25, v15 op_sel_hi:[1,0,1]
	v_pk_fma_f16 v16, v66, v25, v16 op_sel_hi:[1,0,1]
	v_pk_fma_f16 v17, v67, v25, v17 op_sel_hi:[1,0,1]
	v_pk_fma_f16 v18, v68, v25, v18 op_sel_hi:[1,0,1]
	v_pk_fma_f16 v19, v69, v25, v19 op_sel_hi:[1,0,1]
	v_pk_fma_f16 v14, v70, v25, v14 op_sel:[0,1,0]
	v_pk_fma_f16 v11, v71, v25, v11 op_sel:[0,1,0]
	v_pk_fma_f16 v9, v72, v25, v9 op_sel:[0,1,0]
	v_pk_fma_f16 v15, v73, v25, v15 op_sel:[0,1,0]
	v_pk_fma_f16 v16, v74, v25, v16 op_sel:[0,1,0]
	v_pk_fma_f16 v17, v75, v25, v17 op_sel:[0,1,0]
	v_pk_fma_f16 v18, v76, v25, v18 op_sel:[0,1,0]
	v_pk_fma_f16 v19, v77, v25, v19 op_sel:[0,1,0]
	;; [unrolled: 16-line block ×4, first 2 shown]
	s_waitcnt vmcnt(1)
	ds_write_b128 v46, v[110:113]
	s_waitcnt vmcnt(0)
	ds_write_b128 v47, v[114:117]
	s_waitcnt lgkmcnt(0)
	s_barrier
	ds_read2_b64 v[14:17], v48 offset1:32
	ds_read2_b64 v[18:21], v48 offset0:64 offset1:96
	ds_read_b128 v[22:25], v44 offset:96
	ds_read2_b64 v[26:29], v48 offset0:128 offset1:160
	ds_read2_b64 v[58:61], v48 offset0:192 offset1:224
	ds_read2_b64 v[62:65], v54 offset1:32
	ds_read2_b64 v[66:69], v54 offset0:64 offset1:96
	ds_read2_b64 v[70:73], v54 offset0:128 offset1:160
	ds_read2_b64 v[74:77], v54 offset0:192 offset1:224
	ds_read2_b64 v[78:81], v55 offset1:32
	ds_read2_b64 v[82:85], v55 offset0:64 offset1:96
	ds_read2_b64 v[86:89], v55 offset0:128 offset1:160
	ds_read2_b64 v[90:93], v55 offset0:192 offset1:224
	ds_read2_b64 v[94:97], v56 offset1:32
	ds_read2_b64 v[98:101], v56 offset0:64 offset1:96
	ds_read2_b64 v[102:105], v56 offset0:128 offset1:160
	ds_read2_b64 v[106:109], v56 offset0:192 offset1:224
	s_waitcnt lgkmcnt(0)
	s_barrier
	global_load_dwordx4 v[110:113], v[12:13], off
	global_load_dwordx4 v[114:117], v[12:13], off offset:512
	v_pk_fma_f16 v12, v14, v22, v30 op_sel_hi:[1,0,1]
	v_pk_fma_f16 v11, v15, v22, v11 op_sel_hi:[1,0,1]
	v_pk_fma_f16 v9, v16, v22, v9 op_sel_hi:[1,0,1]
	v_pk_fma_f16 v13, v17, v22, v31 op_sel_hi:[1,0,1]
	v_pk_fma_f16 v14, v18, v22, v57 op_sel_hi:[1,0,1]
	v_pk_fma_f16 v15, v19, v22, v118 op_sel_hi:[1,0,1]
	v_pk_fma_f16 v16, v20, v22, v119 op_sel_hi:[1,0,1]
	v_pk_fma_f16 v17, v21, v22, v120 op_sel_hi:[1,0,1]
	v_pk_fma_f16 v12, v26, v22, v12 op_sel:[0,1,0]
	v_pk_fma_f16 v11, v27, v22, v11 op_sel:[0,1,0]
	v_pk_fma_f16 v9, v28, v22, v9 op_sel:[0,1,0]
	v_pk_fma_f16 v13, v29, v22, v13 op_sel:[0,1,0]
	v_pk_fma_f16 v14, v58, v22, v14 op_sel:[0,1,0]
	v_pk_fma_f16 v15, v59, v22, v15 op_sel:[0,1,0]
	v_pk_fma_f16 v16, v60, v22, v16 op_sel:[0,1,0]
	v_pk_fma_f16 v17, v61, v22, v17 op_sel:[0,1,0]
	v_pk_fma_f16 v12, v62, v23, v12 op_sel_hi:[1,0,1]
	v_pk_fma_f16 v11, v63, v23, v11 op_sel_hi:[1,0,1]
	v_pk_fma_f16 v9, v64, v23, v9 op_sel_hi:[1,0,1]
	v_pk_fma_f16 v13, v65, v23, v13 op_sel_hi:[1,0,1]
	v_pk_fma_f16 v14, v66, v23, v14 op_sel_hi:[1,0,1]
	v_pk_fma_f16 v15, v67, v23, v15 op_sel_hi:[1,0,1]
	v_pk_fma_f16 v16, v68, v23, v16 op_sel_hi:[1,0,1]
	v_pk_fma_f16 v17, v69, v23, v17 op_sel_hi:[1,0,1]
	v_pk_fma_f16 v12, v70, v23, v12 op_sel:[0,1,0]
	v_pk_fma_f16 v11, v71, v23, v11 op_sel:[0,1,0]
	v_pk_fma_f16 v9, v72, v23, v9 op_sel:[0,1,0]
	v_pk_fma_f16 v13, v73, v23, v13 op_sel:[0,1,0]
	v_pk_fma_f16 v14, v74, v23, v14 op_sel:[0,1,0]
	v_pk_fma_f16 v15, v75, v23, v15 op_sel:[0,1,0]
	v_pk_fma_f16 v16, v76, v23, v16 op_sel:[0,1,0]
	v_pk_fma_f16 v17, v77, v23, v17 op_sel:[0,1,0]
	;; [unrolled: 16-line block ×4, first 2 shown]
	s_waitcnt vmcnt(1)
	ds_write_b128 v46, v[110:113]
	s_waitcnt vmcnt(0)
	ds_write_b128 v47, v[114:117]
	s_waitcnt lgkmcnt(0)
	s_barrier
	ds_read2_b64 v[12:15], v48 offset1:32
	ds_read2_b64 v[16:19], v48 offset0:64 offset1:96
	ds_read_b128 v[20:23], v44 offset:112
	ds_read2_b64 v[24:27], v48 offset0:128 offset1:160
	ds_read2_b64 v[28:31], v48 offset0:192 offset1:224
	ds_read2_b64 v[58:61], v54 offset1:32
	ds_read2_b64 v[62:65], v54 offset0:64 offset1:96
	ds_read2_b64 v[66:69], v54 offset0:128 offset1:160
	ds_read2_b64 v[70:73], v54 offset0:192 offset1:224
	ds_read2_b64 v[74:77], v55 offset1:32
	ds_read2_b64 v[78:81], v55 offset0:64 offset1:96
	;; [unrolled: 4-line block ×3, first 2 shown]
	ds_read2_b64 v[98:101], v56 offset0:128 offset1:160
	ds_read2_b64 v[102:105], v56 offset0:192 offset1:224
	s_waitcnt lgkmcnt(0)
	s_barrier
	s_load_dword s0, s[18:19], 0x4
	v_pk_fma_f16 v12, v12, v20, v57 op_sel_hi:[1,0,1]
	v_pk_fma_f16 v11, v13, v20, v11 op_sel_hi:[1,0,1]
	;; [unrolled: 1-line block ×8, first 2 shown]
	v_pk_fma_f16 v12, v24, v20, v12 op_sel:[0,1,0]
	v_pk_fma_f16 v11, v25, v20, v11 op_sel:[0,1,0]
	;; [unrolled: 1-line block ×8, first 2 shown]
	v_pk_fma_f16 v12, v58, v21, v12 op_sel_hi:[1,0,1]
	v_pk_fma_f16 v11, v59, v21, v11 op_sel_hi:[1,0,1]
	;; [unrolled: 1-line block ×8, first 2 shown]
	v_pk_fma_f16 v12, v66, v21, v12 op_sel:[0,1,0]
	v_pk_fma_f16 v11, v67, v21, v11 op_sel:[0,1,0]
	;; [unrolled: 1-line block ×8, first 2 shown]
	v_pk_fma_f16 v12, v74, v22, v12 op_sel_hi:[1,0,1]
	v_pk_fma_f16 v11, v75, v22, v11 op_sel_hi:[1,0,1]
	;; [unrolled: 1-line block ×8, first 2 shown]
	s_waitcnt lgkmcnt(0)
	s_lshl_b32 s0, s0, 6
	v_pk_fma_f16 v12, v82, v22, v12 op_sel:[0,1,0]
	v_pk_fma_f16 v11, v83, v22, v11 op_sel:[0,1,0]
	;; [unrolled: 1-line block ×8, first 2 shown]
	s_add_i32 s6, s0, s6
	v_pk_fma_f16 v12, v90, v23, v12 op_sel_hi:[1,0,1]
	v_pk_fma_f16 v11, v91, v23, v11 op_sel_hi:[1,0,1]
	;; [unrolled: 1-line block ×8, first 2 shown]
	s_cmp_lt_i32 s6, s28
	v_pk_fma_f16 v64, v98, v23, v12 op_sel:[0,1,0]
	v_pk_fma_f16 v63, v99, v23, v11 op_sel:[0,1,0]
	;; [unrolled: 1-line block ×8, first 2 shown]
	s_cbranch_scc1 .LBB9_9
.LBB9_10:
	v_cmp_lt_i32_e32 vcc, v39, v34
	v_cndmask_b32_e32 v2, v3, v39, vcc
	v_lshlrev_b32_e32 v2, 2, v2
	ds_bpermute_b32 v2, v2, v10
	v_cmp_lt_i32_e32 vcc, v38, v34
	v_cndmask_b32_e32 v4, v3, v38, vcc
	v_lshlrev_b32_e32 v4, 2, v4
	v_cmp_lt_i32_e32 vcc, v37, v34
	s_waitcnt lgkmcnt(0)
	v_add_f32_e32 v2, v10, v2
	ds_bpermute_b32 v4, v4, v2
	v_cndmask_b32_e32 v5, v3, v37, vcc
	v_lshlrev_b32_e32 v5, 2, v5
	v_cmp_lt_i32_e32 vcc, v36, v34
	s_cmp_eq_u64 s[16:17], 0
	s_waitcnt lgkmcnt(0)
	v_add_f32_e32 v2, v2, v4
	ds_bpermute_b32 v4, v5, v2
	v_cndmask_b32_e32 v5, v3, v36, vcc
	v_lshlrev_b32_e32 v5, 2, v5
	v_cmp_lt_i32_e32 vcc, v35, v34
	v_cndmask_b32_e32 v3, v3, v35, vcc
	s_waitcnt lgkmcnt(0)
	v_add_f32_e32 v4, v2, v4
	ds_bpermute_b32 v5, v5, v4
	v_lshlrev_b32_e32 v3, 2, v3
	s_cselect_b64 s[0:1], -1, 0
	s_cmp_lg_u32 s7, 0
	s_cselect_b64 s[2:3], -1, 0
	s_waitcnt lgkmcnt(0)
	v_add_f32_e32 v4, v4, v5
	ds_bpermute_b32 v3, v3, v4
	s_or_b64 s[0:1], s[2:3], s[0:1]
	v_add_u32_e32 v2, s29, v32
	s_and_b64 vcc, exec, s[0:1]
	s_waitcnt lgkmcnt(0)
	v_add_f32_e32 v9, v4, v3
	s_cbranch_vccnz .LBB9_12
; %bb.11:
	v_ashrrev_i32_e32 v3, 31, v2
	v_lshlrev_b64 v[4:5], 2, v[2:3]
	v_mov_b32_e32 v3, s17
	v_add_co_u32_e32 v4, vcc, s16, v4
	v_addc_co_u32_e32 v5, vcc, v3, v5, vcc
	global_load_dword v3, v[4:5], off
	v_max_f32_e32 v4, v8, v8
	s_mov_b32 s0, 0x3fb8aa3b
	s_mov_b32 s1, 0xc2ce8ed0
	s_waitcnt vmcnt(0)
	v_max_f32_e32 v5, v3, v3
	v_max_f32_e32 v4, v4, v5
	v_sub_f32_e32 v5, v8, v4
	v_sub_f32_e32 v3, v3, v4
	v_mul_f32_e32 v6, 0x3fb8aa3b, v5
	v_mul_f32_e32 v7, 0x3fb8aa3b, v3
	v_fma_f32 v8, v5, s0, -v6
	v_rndne_f32_e32 v10, v6
	v_fma_f32 v11, v3, s0, -v7
	v_rndne_f32_e32 v12, v7
	v_fmac_f32_e32 v8, 0x32a5705f, v5
	v_sub_f32_e32 v6, v6, v10
	v_fmac_f32_e32 v11, 0x32a5705f, v3
	v_sub_f32_e32 v7, v7, v12
	v_add_f32_e32 v6, v6, v8
	v_cvt_i32_f32_e32 v10, v10
	v_add_f32_e32 v7, v7, v11
	v_exp_f32_e32 v6, v6
	v_cvt_i32_f32_e32 v12, v12
	v_exp_f32_e32 v7, v7
	v_cmp_ngt_f32_e32 vcc, s1, v5
	v_ldexp_f32 v6, v6, v10
	s_mov_b32 s0, 0x42b17218
	v_ldexp_f32 v7, v7, v12
	v_cndmask_b32_e32 v6, 0, v6, vcc
	v_cmp_ngt_f32_e32 vcc, s1, v3
	v_mov_b32_e32 v8, 0x7f800000
	v_cndmask_b32_e32 v7, 0, v7, vcc
	v_cmp_nlt_f32_e32 vcc, s0, v5
	v_cndmask_b32_e32 v6, v8, v6, vcc
	v_cvt_f16_f32_e32 v10, v6
	v_cmp_nlt_f32_e32 vcc, s0, v3
	v_cndmask_b32_e32 v5, v8, v7, vcc
	v_fmac_f32_e32 v5, v9, v6
	v_pk_mul_f16 v64, v10, v64 op_sel_hi:[0,1]
	v_pk_mul_f16 v63, v10, v63 op_sel_hi:[0,1]
	;; [unrolled: 1-line block ×8, first 2 shown]
	v_pk_mov_b32 v[8:9], v[4:5], v[4:5] op_sel:[0,1]
	s_branch .LBB9_13
.LBB9_12:
	v_mov_b32_e32 v5, v9
.LBB9_13:
	v_div_scale_f32 v3, s[0:1], v5, v5, 1.0
	v_rcp_f32_e32 v4, v3
	s_load_dword s4, s[4:5], 0xd4
	s_mul_i32 s33, s33, s26
	v_add_u32_e32 v1, s33, v1
	v_fma_f32 v6, -v3, v4, 1.0
	v_fmac_f32_e32 v4, v6, v4
	v_div_scale_f32 v6, vcc, 1.0, v5, 1.0
	v_mul_f32_e32 v7, v6, v4
	v_fma_f32 v10, -v3, v7, v6
	v_fmac_f32_e32 v7, v10, v4
	v_fma_f32 v3, -v3, v7, v6
	s_waitcnt lgkmcnt(0)
	s_cmp_lg_u32 s4, 1
	v_div_fmas_f32 v3, v3, v4, v7
	v_div_fixup_f32 v3, v3, v5, 1.0
	s_cselect_b64 s[0:1], -1, 0
	v_cndmask_b32_e64 v10, v3, 1.0, s[0:1]
	v_mad_u64_u32 v[2:3], s[2:3], v1, s27, v[2:3]
	v_mul_lo_u32 v1, s4, v2
	v_add_u32_e32 v2, s7, v1
	v_cvt_f32_f16_sdwa v7, v64 dst_sel:DWORD dst_unused:UNUSED_PAD src0_sel:WORD_1
	v_cvt_f32_f16_e32 v6, v64
	v_cvt_f32_f16_sdwa v15, v63 dst_sel:DWORD dst_unused:UNUSED_PAD src0_sel:WORD_1
	v_cvt_f32_f16_e32 v14, v63
	v_lshl_add_u32 v12, v2, 9, v33
	v_mov_b32_e32 v13, 0
	v_lshlrev_b64 v[4:5], 2, v[12:13]
	v_mov_b32_e32 v1, s21
	v_add_co_u32_e32 v16, vcc, s20, v4
	v_addc_co_u32_e32 v17, vcc, v1, v5, vcc
	v_pk_mul_f32 v[4:5], v[10:11], v[6:7] op_sel_hi:[0,1]
	v_pk_mul_f32 v[6:7], v[10:11], v[14:15] op_sel_hi:[0,1]
	global_store_dwordx4 v[16:17], v[4:7], off
	v_cvt_f32_f16_sdwa v15, v61 dst_sel:DWORD dst_unused:UNUSED_PAD src0_sel:WORD_1
	v_cvt_f32_f16_sdwa v7, v62 dst_sel:DWORD dst_unused:UNUSED_PAD src0_sel:WORD_1
	v_cvt_f32_f16_e32 v6, v62
	v_cvt_f32_f16_e32 v14, v61
	v_add_u32_e32 v4, 0x80, v12
	v_mov_b32_e32 v5, v13
	v_lshlrev_b64 v[4:5], 2, v[4:5]
	v_add_co_u32_e32 v16, vcc, s20, v4
	v_addc_co_u32_e32 v17, vcc, v1, v5, vcc
	v_pk_mul_f32 v[4:5], v[10:11], v[6:7] op_sel_hi:[0,1]
	v_pk_mul_f32 v[6:7], v[10:11], v[14:15] op_sel_hi:[0,1]
	global_store_dwordx4 v[16:17], v[4:7], off
	v_cvt_f32_f16_sdwa v15, v59 dst_sel:DWORD dst_unused:UNUSED_PAD src0_sel:WORD_1
	v_cvt_f32_f16_sdwa v7, v60 dst_sel:DWORD dst_unused:UNUSED_PAD src0_sel:WORD_1
	v_cvt_f32_f16_e32 v6, v60
	v_cvt_f32_f16_e32 v14, v59
	v_add_u32_e32 v4, 0x100, v12
	v_mov_b32_e32 v5, v13
	v_lshlrev_b64 v[4:5], 2, v[4:5]
	v_add_co_u32_e32 v16, vcc, s20, v4
	v_addc_co_u32_e32 v17, vcc, v1, v5, vcc
	v_pk_mul_f32 v[4:5], v[10:11], v[6:7] op_sel_hi:[0,1]
	v_pk_mul_f32 v[6:7], v[10:11], v[14:15] op_sel_hi:[0,1]
	v_add_u32_e32 v12, 0x180, v12
	global_store_dwordx4 v[16:17], v[4:7], off
	s_nop 0
	v_lshlrev_b64 v[4:5], 2, v[12:13]
	v_cvt_f32_f16_sdwa v7, v58 dst_sel:DWORD dst_unused:UNUSED_PAD src0_sel:WORD_1
	v_cvt_f32_f16_e32 v6, v58
	v_cvt_f32_f16_sdwa v13, v57 dst_sel:DWORD dst_unused:UNUSED_PAD src0_sel:WORD_1
	v_cvt_f32_f16_e32 v12, v57
	v_add_co_u32_e32 v14, vcc, s20, v4
	v_addc_co_u32_e32 v15, vcc, v1, v5, vcc
	v_cmp_eq_u32_e32 vcc, 0, v0
	v_pk_mul_f32 v[4:5], v[10:11], v[6:7] op_sel_hi:[0,1]
	v_pk_mul_f32 v[6:7], v[10:11], v[12:13] op_sel_hi:[0,1]
	s_and_b64 s[0:1], vcc, s[0:1]
	global_store_dwordx4 v[14:15], v[4:7], off
	s_and_saveexec_b64 s[2:3], s[0:1]
	s_cbranch_execz .LBB9_15
; %bb.14:
	v_ashrrev_i32_e32 v3, 31, v2
	v_lshlrev_b64 v[0:1], 3, v[2:3]
	v_mov_b32_e32 v2, s23
	v_add_co_u32_e32 v0, vcc, s22, v0
	v_addc_co_u32_e32 v1, vcc, v2, v1, vcc
	global_store_dwordx2 v[0:1], v[8:9], off
.LBB9_15:
	s_endpgm
	.section	.rodata,"a",@progbits
	.p2align	6, 0x0
	.amdhsa_kernel _ZL15flash_attn_tileILi512ELi512ELi1ELi8ELb0EEvPKcS1_S1_S1_S1_PKiPfP15HIP_vector_typeIfLj2EEffffjfiS5_IjLj3EEiiiiiiiiiiiliiliiiiil
		.amdhsa_group_segment_fixed_size 18432
		.amdhsa_private_segment_fixed_size 0
		.amdhsa_kernarg_size 464
		.amdhsa_user_sgpr_count 6
		.amdhsa_user_sgpr_private_segment_buffer 1
		.amdhsa_user_sgpr_dispatch_ptr 0
		.amdhsa_user_sgpr_queue_ptr 0
		.amdhsa_user_sgpr_kernarg_segment_ptr 1
		.amdhsa_user_sgpr_dispatch_id 0
		.amdhsa_user_sgpr_flat_scratch_init 0
		.amdhsa_user_sgpr_kernarg_preload_length 0
		.amdhsa_user_sgpr_kernarg_preload_offset 0
		.amdhsa_user_sgpr_private_segment_size 0
		.amdhsa_uses_dynamic_stack 0
		.amdhsa_system_sgpr_private_segment_wavefront_offset 0
		.amdhsa_system_sgpr_workgroup_id_x 1
		.amdhsa_system_sgpr_workgroup_id_y 1
		.amdhsa_system_sgpr_workgroup_id_z 1
		.amdhsa_system_sgpr_workgroup_info 0
		.amdhsa_system_vgpr_workitem_id 1
		.amdhsa_next_free_vgpr 139
		.amdhsa_next_free_sgpr 45
		.amdhsa_accum_offset 140
		.amdhsa_reserve_vcc 1
		.amdhsa_reserve_flat_scratch 0
		.amdhsa_float_round_mode_32 0
		.amdhsa_float_round_mode_16_64 0
		.amdhsa_float_denorm_mode_32 3
		.amdhsa_float_denorm_mode_16_64 3
		.amdhsa_dx10_clamp 1
		.amdhsa_ieee_mode 1
		.amdhsa_fp16_overflow 0
		.amdhsa_tg_split 0
		.amdhsa_exception_fp_ieee_invalid_op 0
		.amdhsa_exception_fp_denorm_src 0
		.amdhsa_exception_fp_ieee_div_zero 0
		.amdhsa_exception_fp_ieee_overflow 0
		.amdhsa_exception_fp_ieee_underflow 0
		.amdhsa_exception_fp_ieee_inexact 0
		.amdhsa_exception_int_div_zero 0
	.end_amdhsa_kernel
	.section	.text._ZL15flash_attn_tileILi512ELi512ELi1ELi8ELb0EEvPKcS1_S1_S1_S1_PKiPfP15HIP_vector_typeIfLj2EEffffjfiS5_IjLj3EEiiiiiiiiiiiliiliiiiil,"axG",@progbits,_ZL15flash_attn_tileILi512ELi512ELi1ELi8ELb0EEvPKcS1_S1_S1_S1_PKiPfP15HIP_vector_typeIfLj2EEffffjfiS5_IjLj3EEiiiiiiiiiiiliiliiiiil,comdat
.Lfunc_end9:
	.size	_ZL15flash_attn_tileILi512ELi512ELi1ELi8ELb0EEvPKcS1_S1_S1_S1_PKiPfP15HIP_vector_typeIfLj2EEffffjfiS5_IjLj3EEiiiiiiiiiiiliiliiiiil, .Lfunc_end9-_ZL15flash_attn_tileILi512ELi512ELi1ELi8ELb0EEvPKcS1_S1_S1_S1_PKiPfP15HIP_vector_typeIfLj2EEffffjfiS5_IjLj3EEiiiiiiiiiiiliiliiiiil
                                        ; -- End function
	.section	.AMDGPU.csdata,"",@progbits
; Kernel info:
; codeLenInByte = 15896
; NumSgprs: 49
; NumVgprs: 139
; NumAgprs: 0
; TotalNumVgprs: 139
; ScratchSize: 0
; MemoryBound: 0
; FloatMode: 240
; IeeeMode: 1
; LDSByteSize: 18432 bytes/workgroup (compile time only)
; SGPRBlocks: 6
; VGPRBlocks: 17
; NumSGPRsForWavesPerEU: 49
; NumVGPRsForWavesPerEU: 139
; AccumOffset: 140
; Occupancy: 3
; WaveLimiterHint : 1
; COMPUTE_PGM_RSRC2:SCRATCH_EN: 0
; COMPUTE_PGM_RSRC2:USER_SGPR: 6
; COMPUTE_PGM_RSRC2:TRAP_HANDLER: 0
; COMPUTE_PGM_RSRC2:TGID_X_EN: 1
; COMPUTE_PGM_RSRC2:TGID_Y_EN: 1
; COMPUTE_PGM_RSRC2:TGID_Z_EN: 1
; COMPUTE_PGM_RSRC2:TIDIG_COMP_CNT: 1
; COMPUTE_PGM_RSRC3_GFX90A:ACCUM_OFFSET: 34
; COMPUTE_PGM_RSRC3_GFX90A:TG_SPLIT: 0
	.section	.text._ZL25flash_attn_mask_to_KV_maxILi1EEvPK7__half2Piiii,"axG",@progbits,_ZL25flash_attn_mask_to_KV_maxILi1EEvPK7__half2Piiii,comdat
	.globl	_ZL25flash_attn_mask_to_KV_maxILi1EEvPK7__half2Piiii ; -- Begin function _ZL25flash_attn_mask_to_KV_maxILi1EEvPK7__half2Piiii
	.p2align	8
	.type	_ZL25flash_attn_mask_to_KV_maxILi1EEvPK7__half2Piiii,@function
_ZL25flash_attn_mask_to_KV_maxILi1EEvPK7__half2Piiii: ; @_ZL25flash_attn_mask_to_KV_maxILi1EEvPK7__half2Piiii
; %bb.0:
	s_load_dwordx4 s[8:11], s[4:5], 0x0
	v_cmp_gt_u32_e32 vcc, 32, v0
	s_and_saveexec_b64 s[0:1], vcc
	s_cbranch_execz .LBB10_2
; %bb.1:
	v_lshlrev_b32_e32 v1, 2, v0
	v_mov_b32_e32 v2, 1
	ds_write_b32 v1, v2
.LBB10_2:
	s_or_b64 exec, exec, s[0:1]
	s_load_dwordx4 s[0:3], s[4:5], 0x10
	s_load_dword s12, s[4:5], 0x20
	v_and_b32_e32 v2, 31, v0
	v_cmp_eq_u32_e32 vcc, 0, v2
	v_lshlrev_b32_e32 v4, 2, v2
	s_waitcnt lgkmcnt(0)
	s_mul_i32 s2, s7, s2
	s_mul_i32 s1, s6, s1
	s_add_i32 s2, s2, s1
	s_ashr_i32 s3, s2, 31
	v_mbcnt_lo_u32_b32 v2, -1, 0
	s_lshl_b64 s[2:3], s[2:3], 2
	v_mbcnt_hi_u32_b32 v5, -1, v2
	s_add_u32 s13, s8, s2
	v_and_b32_e32 v2, 0x60, v5
	s_addc_u32 s14, s9, s3
	s_lshl_b32 s15, s0, 8
	v_lshrrev_b32_e32 v1, 3, v0
	s_mov_b64 s[4:5], 0
	v_mov_b32_e32 v3, 0
	s_movk_i32 s16, 0x204
	s_movk_i32 s17, 0x7fff
	;; [unrolled: 1-line block ×3, first 2 shown]
	v_add_u32_e32 v6, 32, v2
	v_xor_b32_e32 v7, 16, v5
	v_xor_b32_e32 v8, 8, v5
	;; [unrolled: 1-line block ×5, first 2 shown]
	s_barrier
	s_waitcnt lgkmcnt(0)
                                        ; implicit-def: $sgpr0_sgpr1
	s_branch .LBB10_5
.LBB10_3:                               ;   in Loop: Header=BB10_5 Depth=1
	s_or_b64 exec, exec, s[2:3]
	s_waitcnt lgkmcnt(0)
	s_barrier
	ds_read_b32 v16, v4
	s_waitcnt lgkmcnt(0)
	s_barrier
	ds_bpermute_b32 v2, v2, v16
	v_cmp_ne_u32_e64 s[0:1], 0, v16
	s_waitcnt lgkmcnt(0)
	v_cmp_ne_u32_e64 s[2:3], 0, v2
	s_and_b64 s[2:3], s[0:1], s[2:3]
	v_cndmask_b32_e64 v2, 0, 1, s[2:3]
	ds_bpermute_b32 v2, v12, v2
	s_waitcnt lgkmcnt(0)
	v_cmp_ne_u32_e64 s[0:1], 0, v2
	s_and_b64 s[2:3], s[0:1], s[2:3]
	v_cndmask_b32_e64 v2, 0, 1, s[2:3]
	ds_bpermute_b32 v2, v13, v2
	;; [unrolled: 5-line block ×4, first 2 shown]
	s_xor_b64 s[2:3], s[0:1], -1
	s_waitcnt lgkmcnt(0)
	v_cmp_eq_u32_e64 s[0:1], 0, v2
	s_or_b64 s[0:1], s[0:1], s[2:3]
.LBB10_4:                               ;   in Loop: Header=BB10_5 Depth=1
	s_and_b64 s[2:3], exec, s[0:1]
	s_or_b64 s[4:5], s[2:3], s[4:5]
	v_mov_b32_e32 v2, s15
	s_mov_b32 s15, s19
	s_andn2_b64 exec, exec, s[4:5]
	s_cbranch_execz .LBB10_8
.LBB10_5:                               ; =>This Inner Loop Header: Depth=1
	s_add_i32 s19, s15, 0xffffff00
	s_or_b64 s[0:1], s[0:1], exec
	s_cmp_lt_i32 s19, 0
	s_cbranch_scc1 .LBB10_4
; %bb.6:                                ;   in Loop: Header=BB10_5 Depth=1
	s_lshr_b32 s0, s19, 1
	v_add_u32_e32 v2, s0, v0
	v_lshlrev_b64 v[12:13], 2, v[2:3]
	v_mov_b32_e32 v2, s14
	v_add_co_u32_e64 v12, s[0:1], s13, v12
	v_addc_co_u32_e64 v13, s[0:1], v2, v13, s[0:1]
	global_load_dword v12, v[12:13], off
	v_cmp_lt_i32_e64 s[0:1], v7, v6
	v_cndmask_b32_e64 v2, v5, v7, s[0:1]
	v_lshlrev_b32_e32 v2, 2, v2
	s_waitcnt vmcnt(0)
	v_cmp_class_f16_e64 s[2:3], v12, s16
	v_and_b32_sdwa v12, s17, v12 dst_sel:DWORD dst_unused:UNUSED_PAD src0_sel:DWORD src1_sel:WORD_1
	v_cmp_eq_f16_e64 s[0:1], s18, v12
	s_and_b64 s[2:3], s[2:3], s[0:1]
	v_cndmask_b32_e64 v12, 0, 1, s[2:3]
	ds_bpermute_b32 v13, v2, v12
	v_cmp_lt_i32_e64 s[0:1], v8, v6
	v_cndmask_b32_e64 v12, v5, v8, s[0:1]
	v_lshlrev_b32_e32 v12, 2, v12
	s_waitcnt lgkmcnt(0)
	v_cmp_ne_u32_e64 s[0:1], 0, v13
	s_and_b64 s[2:3], s[2:3], s[0:1]
	v_cndmask_b32_e64 v13, 0, 1, s[2:3]
	ds_bpermute_b32 v14, v12, v13
	v_cmp_lt_i32_e64 s[0:1], v9, v6
	v_cndmask_b32_e64 v13, v5, v9, s[0:1]
	v_lshlrev_b32_e32 v13, 2, v13
	s_waitcnt lgkmcnt(0)
	v_cmp_ne_u32_e64 s[0:1], 0, v14
	;; [unrolled: 8-line block ×3, first 2 shown]
	s_and_b64 s[2:3], s[0:1], s[2:3]
	v_cndmask_b32_e64 v15, 0, 1, s[2:3]
	ds_bpermute_b32 v15, v14, v15
	v_cmp_lt_i32_e64 s[0:1], v11, v6
	v_cndmask_b32_e64 v16, v5, v11, s[0:1]
	s_waitcnt lgkmcnt(0)
	v_cmp_ne_u32_e64 s[0:1], 0, v15
	s_and_b64 s[8:9], s[0:1], s[2:3]
	v_cndmask_b32_e64 v17, 0, 1, s[8:9]
	v_lshlrev_b32_e32 v15, 2, v16
	ds_bpermute_b32 v16, v15, v17
	s_and_saveexec_b64 s[2:3], vcc
	s_cbranch_execz .LBB10_3
; %bb.7:                                ;   in Loop: Header=BB10_5 Depth=1
	s_waitcnt lgkmcnt(0)
	v_cmp_ne_u32_e64 s[0:1], 0, v16
	s_and_b64 s[0:1], s[0:1], s[8:9]
	v_cndmask_b32_e64 v16, 0, 1, s[0:1]
	ds_write_b32 v1, v16
	s_branch .LBB10_3
.LBB10_8:
	s_or_b64 exec, exec, s[4:5]
	v_cmp_eq_u32_e32 vcc, 0, v0
	s_and_saveexec_b64 s[0:1], vcc
	s_cbranch_execz .LBB10_10
; %bb.9:
	s_mul_i32 s0, s12, s7
	s_add_i32 s0, s0, s6
	s_ashr_i32 s1, s0, 31
	s_lshl_b64 s[0:1], s[0:1], 2
	s_add_u32 s0, s10, s0
	s_addc_u32 s1, s11, s1
	v_mov_b32_e32 v0, 0
	global_store_dword v0, v2, s[0:1]
.LBB10_10:
	s_endpgm
	.section	.rodata,"a",@progbits
	.p2align	6, 0x0
	.amdhsa_kernel _ZL25flash_attn_mask_to_KV_maxILi1EEvPK7__half2Piiii
		.amdhsa_group_segment_fixed_size 128
		.amdhsa_private_segment_fixed_size 0
		.amdhsa_kernarg_size 288
		.amdhsa_user_sgpr_count 6
		.amdhsa_user_sgpr_private_segment_buffer 1
		.amdhsa_user_sgpr_dispatch_ptr 0
		.amdhsa_user_sgpr_queue_ptr 0
		.amdhsa_user_sgpr_kernarg_segment_ptr 1
		.amdhsa_user_sgpr_dispatch_id 0
		.amdhsa_user_sgpr_flat_scratch_init 0
		.amdhsa_user_sgpr_kernarg_preload_length 0
		.amdhsa_user_sgpr_kernarg_preload_offset 0
		.amdhsa_user_sgpr_private_segment_size 0
		.amdhsa_uses_dynamic_stack 0
		.amdhsa_system_sgpr_private_segment_wavefront_offset 0
		.amdhsa_system_sgpr_workgroup_id_x 1
		.amdhsa_system_sgpr_workgroup_id_y 1
		.amdhsa_system_sgpr_workgroup_id_z 0
		.amdhsa_system_sgpr_workgroup_info 0
		.amdhsa_system_vgpr_workitem_id 0
		.amdhsa_next_free_vgpr 18
		.amdhsa_next_free_sgpr 20
		.amdhsa_accum_offset 20
		.amdhsa_reserve_vcc 1
		.amdhsa_reserve_flat_scratch 0
		.amdhsa_float_round_mode_32 0
		.amdhsa_float_round_mode_16_64 0
		.amdhsa_float_denorm_mode_32 3
		.amdhsa_float_denorm_mode_16_64 3
		.amdhsa_dx10_clamp 1
		.amdhsa_ieee_mode 1
		.amdhsa_fp16_overflow 0
		.amdhsa_tg_split 0
		.amdhsa_exception_fp_ieee_invalid_op 0
		.amdhsa_exception_fp_denorm_src 0
		.amdhsa_exception_fp_ieee_div_zero 0
		.amdhsa_exception_fp_ieee_overflow 0
		.amdhsa_exception_fp_ieee_underflow 0
		.amdhsa_exception_fp_ieee_inexact 0
		.amdhsa_exception_int_div_zero 0
	.end_amdhsa_kernel
	.section	.text._ZL25flash_attn_mask_to_KV_maxILi1EEvPK7__half2Piiii,"axG",@progbits,_ZL25flash_attn_mask_to_KV_maxILi1EEvPK7__half2Piiii,comdat
.Lfunc_end10:
	.size	_ZL25flash_attn_mask_to_KV_maxILi1EEvPK7__half2Piiii, .Lfunc_end10-_ZL25flash_attn_mask_to_KV_maxILi1EEvPK7__half2Piiii
                                        ; -- End function
	.section	.AMDGPU.csdata,"",@progbits
; Kernel info:
; codeLenInByte = 844
; NumSgprs: 24
; NumVgprs: 18
; NumAgprs: 0
; TotalNumVgprs: 18
; ScratchSize: 0
; MemoryBound: 0
; FloatMode: 240
; IeeeMode: 1
; LDSByteSize: 128 bytes/workgroup (compile time only)
; SGPRBlocks: 2
; VGPRBlocks: 2
; NumSGPRsForWavesPerEU: 24
; NumVGPRsForWavesPerEU: 18
; AccumOffset: 20
; Occupancy: 8
; WaveLimiterHint : 0
; COMPUTE_PGM_RSRC2:SCRATCH_EN: 0
; COMPUTE_PGM_RSRC2:USER_SGPR: 6
; COMPUTE_PGM_RSRC2:TRAP_HANDLER: 0
; COMPUTE_PGM_RSRC2:TGID_X_EN: 1
; COMPUTE_PGM_RSRC2:TGID_Y_EN: 1
; COMPUTE_PGM_RSRC2:TGID_Z_EN: 0
; COMPUTE_PGM_RSRC2:TIDIG_COMP_CNT: 0
; COMPUTE_PGM_RSRC3_GFX90A:ACCUM_OFFSET: 4
; COMPUTE_PGM_RSRC3_GFX90A:TG_SPLIT: 0
	.section	.text._ZL33flash_attn_stream_k_fixup_uniformILi512ELi1ELi8EEvPfPK15HIP_vector_typeIfLj2EEiiiiiiS1_IjLj3EES5_S5_,"axG",@progbits,_ZL33flash_attn_stream_k_fixup_uniformILi512ELi1ELi8EEvPfPK15HIP_vector_typeIfLj2EEiiiiiiS1_IjLj3EES5_S5_,comdat
	.globl	_ZL33flash_attn_stream_k_fixup_uniformILi512ELi1ELi8EEvPfPK15HIP_vector_typeIfLj2EEiiiiiiS1_IjLj3EES5_S5_ ; -- Begin function _ZL33flash_attn_stream_k_fixup_uniformILi512ELi1ELi8EEvPfPK15HIP_vector_typeIfLj2EEiiiiiiS1_IjLj3EES5_S5_
	.p2align	8
	.type	_ZL33flash_attn_stream_k_fixup_uniformILi512ELi1ELi8EEvPfPK15HIP_vector_typeIfLj2EEiiiiiiS1_IjLj3EES5_S5_,@function
_ZL33flash_attn_stream_k_fixup_uniformILi512ELi1ELi8EEvPfPK15HIP_vector_typeIfLj2EEiiiiiiS1_IjLj3EES5_S5_: ; @_ZL33flash_attn_stream_k_fixup_uniformILi512ELi1ELi8EEvPfPK15HIP_vector_typeIfLj2EEiiiiiiS1_IjLj3EES5_S5_
; %bb.0:
	s_load_dwordx8 s[12:19], s[4:5], 0x1c
	s_load_dwordx2 s[10:11], s[4:5], 0x10
	s_load_dwordx4 s[0:3], s[4:5], 0x3c
	s_waitcnt lgkmcnt(0)
	s_mul_hi_u32 s9, s15, s6
	s_add_i32 s9, s6, s9
	s_lshr_b32 s9, s9, s16
	s_mul_i32 s15, s9, s17
	s_sub_i32 s16, s6, s15
	s_mul_hi_u32 s15, s16, s18
	s_add_i32 s15, s16, s15
	s_lshr_b32 s15, s15, s19
	s_mul_i32 s0, s15, s0
	s_sub_i32 s0, s16, s0
	;; [unrolled: 5-line block ×3, first 2 shown]
	s_lshl_b32 s17, s1, 3
	s_add_i32 s16, s16, s7
	s_cmp_lt_i32 s16, s10
	s_cselect_b64 s[0:1], -1, 0
	s_add_i32 s17, s17, s8
	s_cmp_lt_i32 s17, s13
	s_cselect_b64 s[2:3], -1, 0
	s_and_b64 s[0:1], s[0:1], s[2:3]
	s_andn2_b64 vcc, exec, s[0:1]
	s_cbranch_vccnz .LBB11_6
; %bb.1:
	s_mul_i32 s9, s9, s10
	s_load_dwordx4 s[0:3], s[4:5], 0x0
	s_mul_i32 s15, s15, s13
	s_add_i32 s4, s16, s9
	s_mul_i32 s4, s4, s11
	s_add_i32 s5, s17, s15
	s_add_i32 s5, s5, s4
	v_lshl_or_b32 v2, s5, 9, v0
	v_ashrrev_i32_e32 v3, 31, v2
	v_lshlrev_b64 v[2:3], 2, v[2:3]
	s_waitcnt lgkmcnt(0)
	v_mov_b32_e32 v1, s1
	v_add_co_u32_e32 v2, vcc, s0, v2
	v_addc_co_u32_e32 v3, vcc, v1, v3, vcc
	global_load_dword v8, v[2:3], off
	s_mul_i32 s9, s6, s14
	s_add_i32 s4, s9, s14
	s_add_i32 s0, s7, s4
	s_lshl_b32 s0, s0, 3
	s_add_i32 s0, s0, s8
	s_add_i32 s0, s0, -8
	s_ashr_i32 s1, s0, 31
	s_lshl_b64 s[0:1], s[0:1], 3
	s_add_u32 s0, s2, s0
	s_addc_u32 s1, s3, s1
	s_load_dword s5, s[0:1], 0x4
	s_add_i32 s10, s4, -2
	s_cmp_lt_i32 s10, s9
	s_cbranch_scc1 .LBB11_4
; %bb.2:
	s_lshl_b32 s10, s12, 5
	s_ashr_i32 s11, s10, 31
	s_lshl_b64 s[10:11], s[10:11], 2
	s_add_u32 s10, s2, s10
	s_addc_u32 s13, s3, s11
	s_load_dword s0, s[0:1], 0x0
	s_add_i32 s6, s6, 1
	s_lshl_b32 s1, s8, 9
	s_add_i32 s12, s7, s12
	s_mul_i32 s6, s14, s6
	s_lshl_b32 s7, s7, 12
	s_add_i32 s12, s12, s4
	s_lshl_b32 s6, s6, 12
	s_add_i32 s1, s1, s7
	s_add_i32 s11, s4, -1
	s_lshl_b32 s4, s12, 3
	s_add_i32 s1, s1, s6
	s_add_i32 s4, s8, s4
	v_or_b32_e32 v0, s1, v0
	s_add_i32 s4, s4, -16
	v_add_u32_e32 v0, 0xffffe000, v0
	s_waitcnt lgkmcnt(0)
	v_mov_b32_e32 v7, s5
	v_mov_b32_e32 v6, s0
	;; [unrolled: 1-line block ×3, first 2 shown]
	s_mov_b32 s6, 0x3fb8aa3b
	s_mov_b32 s7, 0xc2ce8ed0
	;; [unrolled: 1-line block ×3, first 2 shown]
	v_mov_b32_e32 v5, 0x7f800000
	s_mov_b32 s12, 0xc1a00000
.LBB11_3:                               ; =>This Inner Loop Header: Depth=1
	v_ashrrev_i32_e32 v1, 31, v0
	v_lshlrev_b64 v[10:11], 2, v[0:1]
	v_add_co_u32_e32 v10, vcc, s10, v10
	v_addc_co_u32_e32 v11, vcc, v4, v11, vcc
	global_load_dword v1, v[10:11], off
	s_ashr_i32 s5, s4, 31
	s_lshl_b64 s[0:1], s[4:5], 3
	s_add_u32 s0, s2, s0
	s_addc_u32 s1, s3, s1
	s_load_dwordx2 s[14:15], s[0:1], 0x0
	s_waitcnt vmcnt(1)
	v_mov_b32_e32 v9, v8
	v_max_f32_e32 v8, v6, v6
	v_mov_b32_e32 v10, v7
	s_add_i32 s11, s11, -1
	s_waitcnt lgkmcnt(0)
	v_max_f32_e64 v7, s14, s14
	v_max_f32_e32 v7, v8, v7
	v_sub_f32_e32 v11, s14, v7
	v_sub_f32_e32 v8, v6, v7
	v_mul_f32_e32 v12, 0x3fb8aa3b, v11
	v_mov_b32_e32 v6, v7
	v_mul_f32_e32 v7, 0x3fb8aa3b, v8
	v_fma_f32 v15, v11, s6, -v12
	v_rndne_f32_e32 v16, v12
	v_fma_f32 v13, v8, s6, -v7
	v_rndne_f32_e32 v14, v7
	v_fmac_f32_e32 v15, 0x32a5705f, v11
	v_sub_f32_e32 v12, v12, v16
	v_fmac_f32_e32 v13, 0x32a5705f, v8
	v_sub_f32_e32 v7, v7, v14
	v_add_f32_e32 v12, v12, v15
	v_cvt_i32_f32_e32 v16, v16
	v_add_f32_e32 v7, v7, v13
	v_exp_f32_e32 v12, v12
	v_cvt_i32_f32_e32 v14, v14
	v_exp_f32_e32 v7, v7
	v_cmp_ngt_f32_e32 vcc, s7, v11
	v_ldexp_f32 v12, v12, v16
	v_cmp_ngt_f32_e64 s[0:1], s7, v8
	v_ldexp_f32 v7, v7, v14
	v_cndmask_b32_e32 v12, 0, v12, vcc
	v_cmp_nlt_f32_e32 vcc, s8, v11
	v_cndmask_b32_e64 v7, 0, v7, s[0:1]
	v_cmp_nlt_f32_e64 s[0:1], s8, v8
	v_cndmask_b32_e32 v12, v5, v12, vcc
	v_cmp_le_f32_e32 vcc, s12, v11
	v_cndmask_b32_e64 v7, v5, v7, s[0:1]
	v_cmp_le_f32_e64 s[0:1], s12, v8
	v_cndmask_b32_e32 v8, 0, v12, vcc
	s_add_i32 s4, s4, -8
	v_cndmask_b32_e64 v11, 0, v7, s[0:1]
	v_mul_f32_e32 v7, s15, v8
	v_add_u32_e32 v0, 0xfffff000, v0
	s_cmp_le_i32 s11, s9
	v_fmac_f32_e32 v7, v10, v11
	s_waitcnt vmcnt(0)
	v_mul_f32_e32 v8, v1, v8
	v_fmac_f32_e32 v8, v9, v11
	s_cbranch_scc0 .LBB11_3
	s_branch .LBB11_5
.LBB11_4:
	s_waitcnt lgkmcnt(0)
	v_mov_b32_e32 v7, s5
.LBB11_5:
	s_waitcnt vmcnt(0)
	v_div_scale_f32 v0, s[0:1], v7, v7, v8
	v_rcp_f32_e32 v1, v0
	v_div_scale_f32 v4, vcc, v8, v7, v8
	v_fma_f32 v5, -v0, v1, 1.0
	v_fmac_f32_e32 v1, v5, v1
	v_mul_f32_e32 v5, v4, v1
	v_fma_f32 v6, -v0, v5, v4
	v_fmac_f32_e32 v5, v6, v1
	v_fma_f32 v0, -v0, v5, v4
	v_div_fmas_f32 v0, v0, v1, v5
	v_div_fixup_f32 v0, v0, v7, v8
	global_store_dword v[2:3], v0, off
.LBB11_6:
	s_endpgm
	.section	.rodata,"a",@progbits
	.p2align	6, 0x0
	.amdhsa_kernel _ZL33flash_attn_stream_k_fixup_uniformILi512ELi1ELi8EEvPfPK15HIP_vector_typeIfLj2EEiiiiiiS1_IjLj3EES5_S5_
		.amdhsa_group_segment_fixed_size 0
		.amdhsa_private_segment_fixed_size 0
		.amdhsa_kernarg_size 76
		.amdhsa_user_sgpr_count 6
		.amdhsa_user_sgpr_private_segment_buffer 1
		.amdhsa_user_sgpr_dispatch_ptr 0
		.amdhsa_user_sgpr_queue_ptr 0
		.amdhsa_user_sgpr_kernarg_segment_ptr 1
		.amdhsa_user_sgpr_dispatch_id 0
		.amdhsa_user_sgpr_flat_scratch_init 0
		.amdhsa_user_sgpr_kernarg_preload_length 0
		.amdhsa_user_sgpr_kernarg_preload_offset 0
		.amdhsa_user_sgpr_private_segment_size 0
		.amdhsa_uses_dynamic_stack 0
		.amdhsa_system_sgpr_private_segment_wavefront_offset 0
		.amdhsa_system_sgpr_workgroup_id_x 1
		.amdhsa_system_sgpr_workgroup_id_y 1
		.amdhsa_system_sgpr_workgroup_id_z 1
		.amdhsa_system_sgpr_workgroup_info 0
		.amdhsa_system_vgpr_workitem_id 0
		.amdhsa_next_free_vgpr 17
		.amdhsa_next_free_sgpr 20
		.amdhsa_accum_offset 20
		.amdhsa_reserve_vcc 1
		.amdhsa_reserve_flat_scratch 0
		.amdhsa_float_round_mode_32 0
		.amdhsa_float_round_mode_16_64 0
		.amdhsa_float_denorm_mode_32 3
		.amdhsa_float_denorm_mode_16_64 3
		.amdhsa_dx10_clamp 1
		.amdhsa_ieee_mode 1
		.amdhsa_fp16_overflow 0
		.amdhsa_tg_split 0
		.amdhsa_exception_fp_ieee_invalid_op 0
		.amdhsa_exception_fp_denorm_src 0
		.amdhsa_exception_fp_ieee_div_zero 0
		.amdhsa_exception_fp_ieee_overflow 0
		.amdhsa_exception_fp_ieee_underflow 0
		.amdhsa_exception_fp_ieee_inexact 0
		.amdhsa_exception_int_div_zero 0
	.end_amdhsa_kernel
	.section	.text._ZL33flash_attn_stream_k_fixup_uniformILi512ELi1ELi8EEvPfPK15HIP_vector_typeIfLj2EEiiiiiiS1_IjLj3EES5_S5_,"axG",@progbits,_ZL33flash_attn_stream_k_fixup_uniformILi512ELi1ELi8EEvPfPK15HIP_vector_typeIfLj2EEiiiiiiS1_IjLj3EES5_S5_,comdat
.Lfunc_end11:
	.size	_ZL33flash_attn_stream_k_fixup_uniformILi512ELi1ELi8EEvPfPK15HIP_vector_typeIfLj2EEiiiiiiS1_IjLj3EES5_S5_, .Lfunc_end11-_ZL33flash_attn_stream_k_fixup_uniformILi512ELi1ELi8EEvPfPK15HIP_vector_typeIfLj2EEiiiiiiS1_IjLj3EES5_S5_
                                        ; -- End function
	.section	.AMDGPU.csdata,"",@progbits
; Kernel info:
; codeLenInByte = 828
; NumSgprs: 24
; NumVgprs: 17
; NumAgprs: 0
; TotalNumVgprs: 17
; ScratchSize: 0
; MemoryBound: 0
; FloatMode: 240
; IeeeMode: 1
; LDSByteSize: 0 bytes/workgroup (compile time only)
; SGPRBlocks: 2
; VGPRBlocks: 2
; NumSGPRsForWavesPerEU: 24
; NumVGPRsForWavesPerEU: 17
; AccumOffset: 20
; Occupancy: 8
; WaveLimiterHint : 0
; COMPUTE_PGM_RSRC2:SCRATCH_EN: 0
; COMPUTE_PGM_RSRC2:USER_SGPR: 6
; COMPUTE_PGM_RSRC2:TRAP_HANDLER: 0
; COMPUTE_PGM_RSRC2:TGID_X_EN: 1
; COMPUTE_PGM_RSRC2:TGID_Y_EN: 1
; COMPUTE_PGM_RSRC2:TGID_Z_EN: 1
; COMPUTE_PGM_RSRC2:TIDIG_COMP_CNT: 0
; COMPUTE_PGM_RSRC3_GFX90A:ACCUM_OFFSET: 4
; COMPUTE_PGM_RSRC3_GFX90A:TG_SPLIT: 0
	.section	.text._ZL33flash_attn_stream_k_fixup_generalILi512ELi1ELi8EEvPfPK15HIP_vector_typeIfLj2EEiiiiS1_IjLj3EES5_S5_S5_,"axG",@progbits,_ZL33flash_attn_stream_k_fixup_generalILi512ELi1ELi8EEvPfPK15HIP_vector_typeIfLj2EEiiiiS1_IjLj3EES5_S5_S5_,comdat
	.globl	_ZL33flash_attn_stream_k_fixup_generalILi512ELi1ELi8EEvPfPK15HIP_vector_typeIfLj2EEiiiiS1_IjLj3EES5_S5_S5_ ; -- Begin function _ZL33flash_attn_stream_k_fixup_generalILi512ELi1ELi8EEvPfPK15HIP_vector_typeIfLj2EEiiiiS1_IjLj3EES5_S5_S5_
	.p2align	8
	.type	_ZL33flash_attn_stream_k_fixup_generalILi512ELi1ELi8EEvPfPK15HIP_vector_typeIfLj2EEiiiiS1_IjLj3EES5_S5_S5_,@function
_ZL33flash_attn_stream_k_fixup_generalILi512ELi1ELi8EEvPfPK15HIP_vector_typeIfLj2EEiiiiS1_IjLj3EES5_S5_S5_: ; @_ZL33flash_attn_stream_k_fixup_generalILi512ELi1ELi8EEvPfPK15HIP_vector_typeIfLj2EEiiiiS1_IjLj3EES5_S5_S5_
; %bb.0:
	s_load_dwordx4 s[12:15], s[4:5], 0x10
	s_load_dword s9, s[4:5], 0x50
	s_mov_b32 s2, 0
	s_waitcnt lgkmcnt(0)
	s_mul_hi_i32 s3, s15, s6
	s_cmp_lg_u64 s[2:3], 0
	s_mul_i32 s2, s15, s6
	s_cbranch_scc0 .LBB12_21
; %bb.1:
	v_cvt_f32_u32_e32 v1, s9
	v_cvt_f32_ubyte0_e32 v2, 0
	s_sub_u32 s10, 0, s9
	s_subb_u32 s11, 0, 0
	v_madmk_f32 v1, v2, 0x4f800000, v1
	v_rcp_f32_e32 v1, v1
	v_mul_f32_e32 v1, 0x5f7ffffc, v1
	v_mul_f32_e32 v2, 0x2f800000, v1
	v_trunc_f32_e32 v2, v2
	v_madmk_f32 v1, v2, 0xcf800000, v1
	v_cvt_u32_f32_e32 v2, v2
	v_cvt_u32_f32_e32 v1, v1
	v_readfirstlane_b32 s16, v2
	v_readfirstlane_b32 s17, v1
	s_mul_i32 s18, s10, s16
	s_mul_hi_u32 s20, s10, s17
	s_mul_i32 s19, s11, s17
	s_add_i32 s18, s20, s18
	s_add_i32 s18, s18, s19
	s_mul_i32 s21, s10, s17
	s_mul_hi_u32 s19, s17, s18
	s_mul_i32 s20, s17, s18
	s_mul_hi_u32 s17, s17, s21
	s_add_u32 s17, s17, s20
	s_addc_u32 s19, 0, s19
	s_mul_hi_u32 s22, s16, s21
	s_mul_i32 s21, s16, s21
	s_add_u32 s17, s17, s21
	s_mul_hi_u32 s20, s16, s18
	s_addc_u32 s17, s19, s22
	s_addc_u32 s19, s20, 0
	s_mul_i32 s18, s16, s18
	s_add_u32 s17, s17, s18
	s_addc_u32 s18, 0, s19
	v_add_co_u32_e32 v1, vcc, s17, v1
	s_cmp_lg_u64 vcc, 0
	s_addc_u32 s16, s16, s18
	v_readfirstlane_b32 s18, v1
	s_mul_i32 s17, s10, s16
	s_mul_hi_u32 s19, s10, s18
	s_add_i32 s17, s19, s17
	s_mul_i32 s11, s11, s18
	s_add_i32 s17, s17, s11
	s_mul_i32 s10, s10, s18
	s_mul_hi_u32 s19, s16, s10
	s_mul_i32 s20, s16, s10
	s_mul_i32 s22, s18, s17
	s_mul_hi_u32 s10, s18, s10
	s_mul_hi_u32 s21, s18, s17
	s_add_u32 s10, s10, s22
	s_addc_u32 s18, 0, s21
	s_add_u32 s10, s10, s20
	s_mul_hi_u32 s11, s16, s17
	s_addc_u32 s10, s18, s19
	s_addc_u32 s11, s11, 0
	s_mul_i32 s17, s16, s17
	s_add_u32 s10, s10, s17
	s_addc_u32 s11, 0, s11
	v_add_co_u32_e32 v1, vcc, s10, v1
	s_cmp_lg_u64 vcc, 0
	s_addc_u32 s18, s16, s11
	s_ashr_i32 s10, s3, 31
	s_add_u32 s16, s2, s10
	s_mov_b32 s11, s10
	s_addc_u32 s17, s3, s10
	s_xor_b64 s[16:17], s[16:17], s[10:11]
	v_readfirstlane_b32 s20, v1
	s_mul_i32 s19, s16, s18
	s_mul_hi_u32 s21, s16, s20
	s_mul_hi_u32 s3, s16, s18
	s_add_u32 s19, s21, s19
	s_addc_u32 s3, 0, s3
	s_mul_hi_u32 s22, s17, s20
	s_mul_i32 s20, s17, s20
	s_add_u32 s19, s19, s20
	s_mul_hi_u32 s21, s17, s18
	s_addc_u32 s3, s3, s22
	s_addc_u32 s19, s21, 0
	s_mul_i32 s18, s17, s18
	s_add_u32 s3, s3, s18
	s_addc_u32 s18, 0, s19
	s_add_u32 s19, s3, 1
	s_addc_u32 s20, s18, 0
	s_add_u32 s21, s3, 2
	s_mul_i32 s23, s9, s18
	s_mul_hi_u32 s24, s9, s3
	s_addc_u32 s22, s18, 0
	s_add_i32 s24, s24, s23
	s_mul_i32 s23, s9, s3
	v_mov_b32_e32 v1, s23
	v_sub_co_u32_e32 v1, vcc, s16, v1
	s_cmp_lg_u64 vcc, 0
	s_subb_u32 s16, s17, s24
	v_subrev_co_u32_e32 v2, vcc, s9, v1
	s_cmp_lg_u64 vcc, 0
	s_subb_u32 s17, s16, 0
	v_readfirstlane_b32 s23, v2
	s_cmp_ge_u32 s23, s9
	s_cselect_b32 s23, -1, 0
	s_cmp_eq_u32 s17, 0
	s_cselect_b32 s17, s23, -1
	s_cmp_lg_u32 s17, 0
	s_cselect_b32 s17, s22, s20
	v_readfirstlane_b32 s20, v1
	s_cselect_b32 s19, s21, s19
	s_cmp_ge_u32 s20, s9
	s_cselect_b32 s20, -1, 0
	s_cmp_eq_u32 s16, 0
	s_cselect_b32 s16, s20, -1
	s_cmp_lg_u32 s16, 0
	s_cselect_b32 s17, s17, s18
	s_cselect_b32 s16, s19, s3
	s_xor_b64 s[16:17], s[16:17], s[10:11]
	s_sub_u32 s20, s16, s10
	s_load_dwordx4 s[16:19], s[4:5], 0x44
	s_cbranch_execnz .LBB12_3
.LBB12_2:
	v_cvt_f32_u32_e32 v1, s9
	s_sub_i32 s0, 0, s9
	v_rcp_iflag_f32_e32 v1, v1
	v_mul_f32_e32 v1, 0x4f7ffffe, v1
	v_cvt_u32_f32_e32 v1, v1
	v_readfirstlane_b32 s1, v1
	s_mul_i32 s0, s0, s1
	s_mul_hi_u32 s0, s1, s0
	s_add_i32 s1, s1, s0
	s_mul_hi_u32 s0, s2, s1
	s_mul_i32 s3, s0, s9
	s_sub_i32 s2, s2, s3
	s_add_i32 s1, s0, 1
	s_sub_i32 s3, s2, s9
	s_cmp_ge_u32 s2, s9
	s_cselect_b32 s0, s1, s0
	s_cselect_b32 s2, s3, s2
	s_add_i32 s1, s0, 1
	s_cmp_ge_u32 s2, s9
	s_cselect_b32 s20, s1, s0
.LBB12_3:
	s_add_i32 s0, s6, 1
	s_mul_hi_i32 s3, s15, s0
	s_mov_b32 s2, 0
	s_cmp_lg_u64 s[2:3], 0
	s_mul_i32 s2, s15, s0
	s_cbranch_scc0 .LBB12_22
; %bb.4:
	v_cvt_f32_u32_e32 v1, s9
	v_cvt_f32_ubyte0_e32 v2, 0
	s_sub_u32 s10, 0, s9
	s_subb_u32 s11, 0, 0
	v_madmk_f32 v1, v2, 0x4f800000, v1
	v_rcp_f32_e32 v1, v1
	v_mul_f32_e32 v1, 0x5f7ffffc, v1
	v_mul_f32_e32 v2, 0x2f800000, v1
	v_trunc_f32_e32 v2, v2
	v_madmk_f32 v1, v2, 0xcf800000, v1
	v_cvt_u32_f32_e32 v2, v2
	v_cvt_u32_f32_e32 v1, v1
	s_waitcnt lgkmcnt(0)
	v_readfirstlane_b32 s19, v2
	v_readfirstlane_b32 s21, v1
	s_mul_i32 s22, s10, s19
	s_mul_hi_u32 s24, s10, s21
	s_mul_i32 s23, s11, s21
	s_add_i32 s22, s24, s22
	s_add_i32 s22, s22, s23
	s_mul_i32 s25, s10, s21
	s_mul_hi_u32 s23, s21, s22
	s_mul_i32 s24, s21, s22
	s_mul_hi_u32 s21, s21, s25
	s_add_u32 s21, s21, s24
	s_addc_u32 s23, 0, s23
	s_mul_hi_u32 s26, s19, s25
	s_mul_i32 s25, s19, s25
	s_add_u32 s21, s21, s25
	s_mul_hi_u32 s24, s19, s22
	s_addc_u32 s21, s23, s26
	s_addc_u32 s23, s24, 0
	s_mul_i32 s22, s19, s22
	s_add_u32 s21, s21, s22
	s_addc_u32 s22, 0, s23
	v_add_co_u32_e32 v1, vcc, s21, v1
	s_cmp_lg_u64 vcc, 0
	s_addc_u32 s19, s19, s22
	v_readfirstlane_b32 s22, v1
	s_mul_i32 s21, s10, s19
	s_mul_hi_u32 s23, s10, s22
	s_add_i32 s21, s23, s21
	s_mul_i32 s11, s11, s22
	s_add_i32 s21, s21, s11
	s_mul_i32 s10, s10, s22
	s_mul_hi_u32 s23, s19, s10
	s_mul_i32 s24, s19, s10
	s_mul_i32 s26, s22, s21
	s_mul_hi_u32 s10, s22, s10
	s_mul_hi_u32 s25, s22, s21
	s_add_u32 s10, s10, s26
	s_addc_u32 s22, 0, s25
	s_add_u32 s10, s10, s24
	s_mul_hi_u32 s11, s19, s21
	s_addc_u32 s10, s22, s23
	s_addc_u32 s11, s11, 0
	s_mul_i32 s21, s19, s21
	s_add_u32 s10, s10, s21
	s_addc_u32 s11, 0, s11
	v_add_co_u32_e32 v1, vcc, s10, v1
	s_cmp_lg_u64 vcc, 0
	s_addc_u32 s19, s19, s11
	s_ashr_i32 s10, s3, 31
	s_add_u32 s22, s2, s10
	s_mov_b32 s11, s10
	s_addc_u32 s23, s3, s10
	s_xor_b64 s[22:23], s[22:23], s[10:11]
	v_readfirstlane_b32 s21, v1
	s_mul_i32 s11, s22, s19
	s_mul_hi_u32 s24, s22, s21
	s_mul_hi_u32 s3, s22, s19
	s_add_u32 s11, s24, s11
	s_addc_u32 s3, 0, s3
	s_mul_hi_u32 s25, s23, s21
	s_mul_i32 s21, s23, s21
	s_add_u32 s11, s11, s21
	s_mul_hi_u32 s24, s23, s19
	s_addc_u32 s3, s3, s25
	s_addc_u32 s11, s24, 0
	s_mul_i32 s19, s23, s19
	s_add_u32 s3, s3, s19
	s_addc_u32 s11, 0, s11
	s_mul_i32 s11, s9, s11
	s_mul_hi_u32 s24, s9, s3
	s_add_i32 s24, s24, s11
	s_mul_i32 s11, s9, s3
	v_mov_b32_e32 v1, s11
	s_add_u32 s19, s3, 1
	s_add_u32 s21, s3, 2
	v_sub_co_u32_e32 v1, vcc, s22, v1
	s_cmp_lg_u64 vcc, 0
	s_subb_u32 s11, s23, s24
	v_subrev_co_u32_e32 v2, vcc, s9, v1
	s_cmp_lg_u64 vcc, 0
	s_subb_u32 s22, s11, 0
	v_cmp_le_u32_e32 vcc, s9, v2
	s_cmp_eq_u32 s22, 0
	v_cndmask_b32_e64 v2, 0, -1, vcc
	s_cselect_b64 vcc, -1, 0
	v_cndmask_b32_e32 v2, -1, v2, vcc
	v_mov_b32_e32 v3, s19
	v_mov_b32_e32 v4, s21
	v_cmp_ne_u32_e32 vcc, 0, v2
	v_cndmask_b32_e32 v2, v3, v4, vcc
	v_cmp_le_u32_e32 vcc, s9, v1
	s_cmp_eq_u32 s11, 0
	v_cndmask_b32_e64 v1, 0, -1, vcc
	s_cselect_b64 vcc, -1, 0
	v_cndmask_b32_e32 v1, -1, v1, vcc
	v_mov_b32_e32 v3, s3
	v_cmp_ne_u32_e32 vcc, 0, v1
	v_cndmask_b32_e32 v1, v3, v2, vcc
	v_xor_b32_e32 v1, s10, v1
	v_subrev_co_u32_e32 v2, vcc, s10, v1
	s_cbranch_execnz .LBB12_6
.LBB12_5:
	v_cvt_f32_u32_e32 v1, s9
	s_sub_i32 s0, 0, s9
	s_mov_b32 s1, 0
	v_rcp_iflag_f32_e32 v1, v1
	v_mul_f32_e32 v1, 0x4f7ffffe, v1
	v_cvt_u32_f32_e32 v1, v1
	v_readfirstlane_b32 s3, v1
	s_mul_i32 s0, s0, s3
	s_mul_hi_u32 s0, s3, s0
	s_add_i32 s3, s3, s0
	s_mul_hi_u32 s0, s2, s3
	s_mul_i32 s10, s0, s9
	s_sub_i32 s2, s2, s10
	s_add_i32 s3, s0, 1
	s_sub_i32 s10, s2, s9
	s_cmp_ge_u32 s2, s9
	s_cselect_b32 s0, s3, s0
	s_cselect_b32 s2, s10, s2
	s_add_i32 s3, s0, 1
	s_cmp_ge_u32 s2, s9
	s_cselect_b32 s0, s3, s0
	v_pk_mov_b32 v[2:3], s[0:1], s[0:1] op_sel:[0,1]
.LBB12_6:
	s_waitcnt lgkmcnt(0)
	s_mul_hi_u32 s0, s20, s16
	s_add_i32 s0, s0, s20
	v_mul_hi_u32 v1, v2, s16
	s_lshr_b32 s19, s0, s17
	v_add_u32_e32 v1, v1, v2
	s_mul_i32 s0, s19, s18
	v_lshrrev_b32_e32 v1, s17, v1
	s_cmp_eq_u32 s0, s20
	v_cmp_eq_u32_e64 s[0:1], s19, v1
	v_mul_lo_u32 v1, v1, s18
	v_cmp_eq_u32_e32 vcc, s20, v2
	s_cselect_b64 s[10:11], -1, 0
	v_cmp_ne_u32_e64 s[2:3], v1, v2
	s_and_b64 s[0:1], s[0:1], s[2:3]
	s_or_b64 s[2:3], vcc, s[10:11]
	s_or_b64 s[0:1], s[2:3], s[0:1]
	s_and_b64 vcc, exec, s[0:1]
	s_cbranch_vccnz .LBB12_24
; %bb.7:
	s_load_dwordx8 s[24:31], s[4:5], 0x20
	s_load_dword s0, s[4:5], 0x40
	s_mov_b32 s10, 0
	s_waitcnt lgkmcnt(0)
	s_mul_hi_u32 s1, s20, s24
	s_add_i32 s1, s1, s20
	s_lshr_b32 s11, s1, s25
	s_mul_i32 s1, s11, s26
	s_sub_i32 s1, s20, s1
	s_mul_hi_u32 s2, s1, s27
	s_add_i32 s2, s1, s2
	s_lshr_b32 s21, s2, s28
	s_mul_i32 s2, s21, s29
	s_sub_i32 s1, s1, s2
	;; [unrolled: 5-line block ×3, first 2 shown]
	s_mul_hi_u32 s1, s0, s16
	s_add_i32 s0, s0, s1
	s_lshr_b32 s22, s0, s17
	s_lshl_b32 s23, s2, 3
	s_add_i32 s22, s22, s7
	s_cmp_lt_i32 s22, s12
	s_cselect_b64 s[0:1], -1, 0
	s_add_i32 s23, s23, s8
	s_cmp_lt_i32 s23, s14
	s_cselect_b64 s[2:3], -1, 0
	s_and_b64 s[0:1], s[0:1], s[2:3]
	s_andn2_b64 vcc, exec, s[0:1]
	s_cbranch_vccnz .LBB12_24
; %bb.8:
	s_load_dwordx4 s[0:3], s[4:5], 0x0
	s_lshl_b32 s4, s9, 5
	s_mov_b32 s5, s10
	s_lshl_b64 s[4:5], s[4:5], 2
	s_mul_i32 s24, s21, s14
	s_waitcnt lgkmcnt(0)
	s_add_u32 s14, s2, s4
	s_mul_i32 s11, s11, s12
	s_addc_u32 s21, s3, s5
	s_add_i32 s4, s22, s11
	s_mul_i32 s4, s4, s13
	s_add_i32 s5, s23, s24
	s_add_i32 s5, s5, s4
	v_lshl_or_b32 v2, s5, 9, v0
	v_ashrrev_i32_e32 v3, 31, v2
	v_lshlrev_b64 v[2:3], 2, v[2:3]
	v_mov_b32_e32 v1, s1
	v_add_co_u32_e32 v2, vcc, s0, v2
	v_addc_co_u32_e32 v3, vcc, v1, v3, vcc
	global_load_dword v5, v[2:3], off
	v_lshl_or_b32 v4, s8, 9, v0
	v_cvt_f32_u32_e32 v0, s9
	v_cvt_f32_ubyte0_e32 v1, 0
	s_add_i32 s0, s7, s6
	s_lshl_b32 s0, s0, 3
	v_mac_f32_e32 v0, 0x4f800000, v1
	v_rcp_f32_e32 v0, v0
	v_cvt_f32_u32_e32 v1, s9
	s_add_i32 s0, s0, s8
	s_ashr_i32 s1, s0, 31
	s_lshl_b64 s[0:1], s[0:1], 3
	v_mul_f32_e32 v0, 0x5f7ffffc, v0
	v_rcp_iflag_f32_e32 v1, v1
	s_add_u32 s0, s2, s0
	v_mul_f32_e32 v9, 0x2f800000, v0
	s_addc_u32 s1, s3, s1
	v_trunc_f32_e32 v10, v9
	s_load_dwordx2 s[0:1], s[0:1], 0x0
	v_mac_f32_e32 v0, 0xcf800000, v10
	v_cvt_u32_f32_e32 v9, v0
	v_mul_f32_e32 v0, 0x4f7ffffe, v1
	v_cvt_u32_f32_e32 v10, v10
	v_cvt_u32_f32_e32 v11, v0
	s_add_i32 s13, s6, -1
	s_waitcnt lgkmcnt(0)
	v_mov_b32_e32 v6, s1
	v_mov_b32_e32 v7, s0
	;; [unrolled: 1-line block ×3, first 2 shown]
	s_mov_b32 s6, 0x3fb8aa3b
	s_mov_b32 s12, 0xc2ce8ed0
	;; [unrolled: 1-line block ×4, first 2 shown]
	v_mov_b32_e32 v12, 0x7f800000
	s_mul_hi_i32 s11, s13, s15
	s_cmp_lg_u64 s[10:11], 0
	s_mul_i32 s4, s13, s15
	s_cbranch_scc0 .LBB12_15
.LBB12_9:
	s_sub_u32 s0, 0, s9
	v_readfirstlane_b32 s5, v9
	v_readfirstlane_b32 s25, v10
	s_subb_u32 s1, 0, 0
	s_mul_hi_u32 s24, s0, s5
	s_mul_i32 s26, s0, s25
	s_mul_i32 s23, s1, s5
	s_add_i32 s24, s24, s26
	s_add_i32 s24, s24, s23
	s_mul_i32 s27, s0, s5
	s_mul_hi_u32 s23, s5, s24
	s_mul_i32 s26, s5, s24
	s_mul_hi_u32 s5, s5, s27
	s_add_u32 s5, s5, s26
	s_addc_u32 s23, 0, s23
	s_mul_hi_u32 s28, s25, s27
	s_mul_i32 s27, s25, s27
	s_add_u32 s5, s5, s27
	s_mul_hi_u32 s26, s25, s24
	s_addc_u32 s5, s23, s28
	s_addc_u32 s23, s26, 0
	s_mul_i32 s24, s25, s24
	s_add_u32 s5, s5, s24
	s_addc_u32 s23, 0, s23
	v_add_co_u32_e32 v0, vcc, s5, v9
	s_cmp_lg_u64 vcc, 0
	s_addc_u32 s5, s25, s23
	v_readfirstlane_b32 s24, v0
	s_mul_i32 s23, s0, s5
	s_mul_hi_u32 s25, s0, s24
	s_add_i32 s23, s25, s23
	s_mul_i32 s1, s1, s24
	s_add_i32 s23, s23, s1
	s_mul_i32 s0, s0, s24
	s_mul_hi_u32 s25, s5, s0
	s_mul_i32 s26, s5, s0
	s_mul_i32 s28, s24, s23
	s_mul_hi_u32 s0, s24, s0
	s_mul_hi_u32 s27, s24, s23
	s_add_u32 s0, s0, s28
	s_addc_u32 s24, 0, s27
	s_add_u32 s0, s0, s26
	s_mul_hi_u32 s1, s5, s23
	s_addc_u32 s0, s24, s25
	s_addc_u32 s1, s1, 0
	s_mul_i32 s23, s5, s23
	s_add_u32 s0, s0, s23
	s_addc_u32 s1, 0, s1
	v_add_co_u32_e32 v0, vcc, s0, v0
	s_cmp_lg_u64 vcc, 0
	s_addc_u32 s5, s5, s1
	s_ashr_i32 s0, s11, 31
	s_add_u32 s24, s4, s0
	s_mov_b32 s1, s0
	s_addc_u32 s25, s11, s0
	s_xor_b64 s[24:25], s[24:25], s[0:1]
	v_readfirstlane_b32 s23, v0
	s_mul_i32 s11, s24, s5
	s_mul_hi_u32 s26, s24, s23
	s_mul_hi_u32 s1, s24, s5
	s_add_u32 s11, s26, s11
	s_addc_u32 s1, 0, s1
	s_mul_hi_u32 s27, s25, s23
	s_mul_i32 s23, s25, s23
	s_add_u32 s11, s11, s23
	s_mul_hi_u32 s26, s25, s5
	s_addc_u32 s1, s1, s27
	s_addc_u32 s11, s26, 0
	s_mul_i32 s5, s25, s5
	s_add_u32 s1, s1, s5
	s_addc_u32 s5, 0, s11
	s_mul_i32 s5, s9, s5
	s_mul_hi_u32 s26, s9, s1
	s_add_i32 s26, s26, s5
	s_mul_i32 s5, s9, s1
	v_mov_b32_e32 v0, s5
	s_add_u32 s11, s1, 1
	s_add_u32 s23, s1, 2
	v_sub_co_u32_e32 v0, vcc, s24, v0
	s_cmp_lg_u64 vcc, 0
	s_subb_u32 s5, s25, s26
	v_subrev_co_u32_e32 v1, vcc, s9, v0
	s_cmp_lg_u64 vcc, 0
	s_subb_u32 s24, s5, 0
	v_cmp_le_u32_e32 vcc, s9, v1
	s_cmp_eq_u32 s24, 0
	v_cndmask_b32_e64 v1, 0, -1, vcc
	s_cselect_b64 vcc, -1, 0
	v_cndmask_b32_e32 v1, -1, v1, vcc
	v_mov_b32_e32 v13, s11
	v_mov_b32_e32 v14, s23
	v_cmp_ne_u32_e32 vcc, 0, v1
	v_cndmask_b32_e32 v1, v13, v14, vcc
	v_cmp_le_u32_e32 vcc, s9, v0
	s_cmp_eq_u32 s5, 0
	v_cndmask_b32_e64 v0, 0, -1, vcc
	s_cselect_b64 vcc, -1, 0
	v_cndmask_b32_e32 v0, -1, v0, vcc
	v_mov_b32_e32 v13, s1
	v_cmp_ne_u32_e32 vcc, 0, v0
	v_cndmask_b32_e32 v0, v13, v1, vcc
	v_xor_b32_e32 v0, s0, v0
	v_subrev_co_u32_e32 v0, vcc, s0, v0
	s_cbranch_execnz .LBB12_11
.LBB12_10:
	s_sub_i32 s0, 0, s9
	v_mul_lo_u32 v0, s0, v11
	v_mul_hi_u32 v0, v11, v0
	v_add_u32_e32 v0, v11, v0
	v_mul_hi_u32 v0, s4, v0
	v_mul_lo_u32 v13, v0, s9
	v_sub_u32_e32 v13, s4, v13
	v_add_u32_e32 v1, 1, v0
	v_subrev_u32_e32 v14, s9, v13
	v_cmp_le_u32_e32 vcc, s9, v13
	v_cndmask_b32_e32 v13, v13, v14, vcc
	v_cndmask_b32_e32 v0, v0, v1, vcc
	v_add_u32_e32 v1, 1, v0
	v_cmp_le_u32_e32 vcc, s9, v13
	v_cndmask_b32_e32 v0, v0, v1, vcc
.LBB12_11:
	v_cmp_ne_u32_e32 vcc, v8, v0
	s_cbranch_vccz .LBB12_14
; %bb.12:
	s_add_i32 s23, s13, s7
	s_add_i32 s0, s23, s9
	s_lshl_b32 s0, s0, 3
	v_mul_hi_u32 v1, v0, s16
	s_add_i32 s0, s0, s8
	s_mov_b32 s1, s10
	v_add_u32_e32 v1, v1, v0
	s_lshl_b64 s[0:1], s[0:1], 3
	v_lshrrev_b32_e32 v1, s17, v1
	s_add_u32 s4, s2, s0
	v_mul_lo_u32 v13, v1, s18
	s_addc_u32 s5, s3, s1
	v_cmp_eq_u32_e32 vcc, v13, v0
	v_cmp_gt_u32_e64 s[0:1], s19, v1
	s_or_b64 s[0:1], s[0:1], vcc
	s_and_b64 vcc, exec, s[0:1]
	s_cbranch_vccnz .LBB12_16
; %bb.13:
	s_add_i32 s11, s13, -1
	s_mov_b64 s[0:1], 0
	s_branch .LBB12_17
.LBB12_14:
                                        ; implicit-def: $sgpr0_sgpr1
                                        ; implicit-def: $vgpr14
                                        ; implicit-def: $vgpr1
                                        ; implicit-def: $vgpr13
                                        ; implicit-def: $sgpr11
                                        ; implicit-def: $vgpr0
	s_branch .LBB12_18
.LBB12_15:
                                        ; implicit-def: $vgpr0_vgpr1
	s_branch .LBB12_10
.LBB12_16:
	s_mov_b64 s[0:1], -1
	s_mov_b32 s11, s13
	v_mov_b32_e32 v0, v8
.LBB12_17:
	v_lshl_add_u32 v14, s23, 12, v4
	v_ashrrev_i32_e32 v15, 31, v14
	v_lshlrev_b64 v[14:15], 2, v[14:15]
	v_mov_b32_e32 v1, s21
	v_add_co_u32_e32 v14, vcc, s14, v14
	v_addc_co_u32_e32 v15, vcc, v1, v15, vcc
	global_load_dword v14, v[14:15], off
	s_load_dwordx2 s[4:5], s[4:5], 0x0
	v_max_f32_e32 v1, v7, v7
	s_waitcnt lgkmcnt(0)
	v_max_f32_e64 v13, s4, s4
	v_max_f32_e32 v1, v1, v13
	v_sub_f32_e32 v13, v7, v1
	v_sub_f32_e32 v15, s4, v1
	v_mul_f32_e32 v16, 0x3fb8aa3b, v13
	v_mul_f32_e32 v17, 0x3fb8aa3b, v15
	v_fma_f32 v18, v13, s6, -v16
	v_rndne_f32_e32 v19, v16
	v_fma_f32 v20, v15, s6, -v17
	v_rndne_f32_e32 v21, v17
	v_fmac_f32_e32 v18, 0x32a5705f, v13
	v_sub_f32_e32 v16, v16, v19
	v_fmac_f32_e32 v20, 0x32a5705f, v15
	v_sub_f32_e32 v17, v17, v21
	v_add_f32_e32 v16, v16, v18
	v_cvt_i32_f32_e32 v19, v19
	v_add_f32_e32 v17, v17, v20
	v_exp_f32_e32 v16, v16
	v_cvt_i32_f32_e32 v21, v21
	v_exp_f32_e32 v17, v17
	v_cmp_ngt_f32_e32 vcc, s12, v13
	v_ldexp_f32 v16, v16, v19
	v_cndmask_b32_e32 v16, 0, v16, vcc
	v_ldexp_f32 v17, v17, v21
	v_cmp_ngt_f32_e32 vcc, s12, v15
	v_cndmask_b32_e32 v17, 0, v17, vcc
	v_cmp_nlt_f32_e32 vcc, s20, v13
	v_cndmask_b32_e32 v16, v12, v16, vcc
	v_cmp_nlt_f32_e32 vcc, s20, v15
	v_cndmask_b32_e32 v17, v12, v17, vcc
	v_cmp_le_f32_e32 vcc, s22, v13
	v_cndmask_b32_e32 v16, 0, v16, vcc
	v_cmp_le_f32_e32 vcc, s22, v15
	v_cndmask_b32_e32 v15, 0, v17, vcc
	v_mul_f32_e32 v13, s5, v15
	v_fmac_f32_e32 v13, v6, v16
	s_waitcnt vmcnt(0)
	v_mul_f32_e32 v14, v14, v15
	v_fmac_f32_e32 v14, v5, v16
	s_cbranch_execnz .LBB12_19
.LBB12_18:
	s_add_i32 s11, s13, -1
	s_mov_b64 s[0:1], 0
	v_mov_b32_e32 v0, v8
	v_mov_b32_e32 v13, v6
	;; [unrolled: 1-line block ×3, first 2 shown]
	s_waitcnt vmcnt(0)
	v_mov_b32_e32 v14, v5
.LBB12_19:
	s_andn2_b64 vcc, exec, s[0:1]
	s_cbranch_vccz .LBB12_23
; %bb.20:
	v_mov_b32_e32 v8, v0
	s_mov_b32 s13, s11
	v_mov_b32_e32 v6, v13
	v_mov_b32_e32 v7, v1
	s_waitcnt vmcnt(0)
	v_mov_b32_e32 v5, v14
	s_mul_hi_i32 s11, s13, s15
	s_cmp_lg_u64 s[10:11], 0
	s_mul_i32 s4, s13, s15
	s_cbranch_scc1 .LBB12_9
	s_branch .LBB12_15
.LBB12_21:
                                        ; implicit-def: $sgpr20_sgpr21
	s_load_dwordx4 s[16:19], s[4:5], 0x44
	s_branch .LBB12_2
.LBB12_22:
                                        ; implicit-def: $vgpr2_vgpr3
	s_branch .LBB12_5
.LBB12_23:
	v_div_scale_f32 v0, s[0:1], v13, v13, v14
	v_rcp_f32_e32 v1, v0
	v_div_scale_f32 v4, vcc, v14, v13, v14
	s_waitcnt vmcnt(0)
	v_fma_f32 v5, -v0, v1, 1.0
	v_fmac_f32_e32 v1, v5, v1
	v_mul_f32_e32 v5, v4, v1
	v_fma_f32 v6, -v0, v5, v4
	v_fmac_f32_e32 v5, v6, v1
	v_fma_f32 v0, -v0, v5, v4
	v_div_fmas_f32 v0, v0, v1, v5
	v_div_fixup_f32 v0, v0, v13, v14
	global_store_dword v[2:3], v0, off
.LBB12_24:
	s_endpgm
	.section	.rodata,"a",@progbits
	.p2align	6, 0x0
	.amdhsa_kernel _ZL33flash_attn_stream_k_fixup_generalILi512ELi1ELi8EEvPfPK15HIP_vector_typeIfLj2EEiiiiS1_IjLj3EES5_S5_S5_
		.amdhsa_group_segment_fixed_size 0
		.amdhsa_private_segment_fixed_size 0
		.amdhsa_kernarg_size 336
		.amdhsa_user_sgpr_count 6
		.amdhsa_user_sgpr_private_segment_buffer 1
		.amdhsa_user_sgpr_dispatch_ptr 0
		.amdhsa_user_sgpr_queue_ptr 0
		.amdhsa_user_sgpr_kernarg_segment_ptr 1
		.amdhsa_user_sgpr_dispatch_id 0
		.amdhsa_user_sgpr_flat_scratch_init 0
		.amdhsa_user_sgpr_kernarg_preload_length 0
		.amdhsa_user_sgpr_kernarg_preload_offset 0
		.amdhsa_user_sgpr_private_segment_size 0
		.amdhsa_uses_dynamic_stack 0
		.amdhsa_system_sgpr_private_segment_wavefront_offset 0
		.amdhsa_system_sgpr_workgroup_id_x 1
		.amdhsa_system_sgpr_workgroup_id_y 1
		.amdhsa_system_sgpr_workgroup_id_z 1
		.amdhsa_system_sgpr_workgroup_info 0
		.amdhsa_system_vgpr_workitem_id 0
		.amdhsa_next_free_vgpr 22
		.amdhsa_next_free_sgpr 32
		.amdhsa_accum_offset 24
		.amdhsa_reserve_vcc 1
		.amdhsa_reserve_flat_scratch 0
		.amdhsa_float_round_mode_32 0
		.amdhsa_float_round_mode_16_64 0
		.amdhsa_float_denorm_mode_32 3
		.amdhsa_float_denorm_mode_16_64 3
		.amdhsa_dx10_clamp 1
		.amdhsa_ieee_mode 1
		.amdhsa_fp16_overflow 0
		.amdhsa_tg_split 0
		.amdhsa_exception_fp_ieee_invalid_op 0
		.amdhsa_exception_fp_denorm_src 0
		.amdhsa_exception_fp_ieee_div_zero 0
		.amdhsa_exception_fp_ieee_overflow 0
		.amdhsa_exception_fp_ieee_underflow 0
		.amdhsa_exception_fp_ieee_inexact 0
		.amdhsa_exception_int_div_zero 0
	.end_amdhsa_kernel
	.section	.text._ZL33flash_attn_stream_k_fixup_generalILi512ELi1ELi8EEvPfPK15HIP_vector_typeIfLj2EEiiiiS1_IjLj3EES5_S5_S5_,"axG",@progbits,_ZL33flash_attn_stream_k_fixup_generalILi512ELi1ELi8EEvPfPK15HIP_vector_typeIfLj2EEiiiiS1_IjLj3EES5_S5_S5_,comdat
.Lfunc_end12:
	.size	_ZL33flash_attn_stream_k_fixup_generalILi512ELi1ELi8EEvPfPK15HIP_vector_typeIfLj2EEiiiiS1_IjLj3EES5_S5_S5_, .Lfunc_end12-_ZL33flash_attn_stream_k_fixup_generalILi512ELi1ELi8EEvPfPK15HIP_vector_typeIfLj2EEiiiiS1_IjLj3EES5_S5_S5_
                                        ; -- End function
	.section	.AMDGPU.csdata,"",@progbits
; Kernel info:
; codeLenInByte = 2804
; NumSgprs: 36
; NumVgprs: 22
; NumAgprs: 0
; TotalNumVgprs: 22
; ScratchSize: 0
; MemoryBound: 0
; FloatMode: 240
; IeeeMode: 1
; LDSByteSize: 0 bytes/workgroup (compile time only)
; SGPRBlocks: 4
; VGPRBlocks: 2
; NumSGPRsForWavesPerEU: 36
; NumVGPRsForWavesPerEU: 22
; AccumOffset: 24
; Occupancy: 8
; WaveLimiterHint : 0
; COMPUTE_PGM_RSRC2:SCRATCH_EN: 0
; COMPUTE_PGM_RSRC2:USER_SGPR: 6
; COMPUTE_PGM_RSRC2:TRAP_HANDLER: 0
; COMPUTE_PGM_RSRC2:TGID_X_EN: 1
; COMPUTE_PGM_RSRC2:TGID_Y_EN: 1
; COMPUTE_PGM_RSRC2:TGID_Z_EN: 1
; COMPUTE_PGM_RSRC2:TIDIG_COMP_CNT: 0
; COMPUTE_PGM_RSRC3_GFX90A:ACCUM_OFFSET: 5
; COMPUTE_PGM_RSRC3_GFX90A:TG_SPLIT: 0
	.section	.text._ZL15flash_attn_tileILi512ELi512ELi8ELi4ELb0EEvPKcS1_S1_S1_S1_PKiPfP15HIP_vector_typeIfLj2EEffffjfiS5_IjLj3EEiiiiiiiiiiiliiliiiiil,"axG",@progbits,_ZL15flash_attn_tileILi512ELi512ELi8ELi4ELb0EEvPKcS1_S1_S1_S1_PKiPfP15HIP_vector_typeIfLj2EEffffjfiS5_IjLj3EEiiiiiiiiiiiliiliiiiil,comdat
	.globl	_ZL15flash_attn_tileILi512ELi512ELi8ELi4ELb0EEvPKcS1_S1_S1_S1_PKiPfP15HIP_vector_typeIfLj2EEffffjfiS5_IjLj3EEiiiiiiiiiiiliiliiiiil ; -- Begin function _ZL15flash_attn_tileILi512ELi512ELi8ELi4ELb0EEvPKcS1_S1_S1_S1_PKiPfP15HIP_vector_typeIfLj2EEffffjfiS5_IjLj3EEiiiiiiiiiiiliiliiiiil
	.p2align	8
	.type	_ZL15flash_attn_tileILi512ELi512ELi8ELi4ELb0EEvPKcS1_S1_S1_S1_PKiPfP15HIP_vector_typeIfLj2EEffffjfiS5_IjLj3EEiiiiiiiiiiiliiliiiiil,@function
_ZL15flash_attn_tileILi512ELi512ELi8ELi4ELb0EEvPKcS1_S1_S1_S1_PKiPfP15HIP_vector_typeIfLj2EEffffjfiS5_IjLj3EEiiiiiiiiiiiliiliiiiil: ; @_ZL15flash_attn_tileILi512ELi512ELi8ELi4ELb0EEvPKcS1_S1_S1_S1_PKiPfP15HIP_vector_typeIfLj2EEffffjfiS5_IjLj3EEiiiiiiiiiiiliiliiiiil
; %bb.0:
	s_load_dwordx4 s[36:39], s[4:5], 0x5c
	s_load_dwordx2 s[34:35], s[4:5], 0x80
	s_load_dwordx16 s[16:31], s[4:5], 0x0
	s_mov_b64 s[40:41], 0
	s_waitcnt lgkmcnt(0)
	s_ashr_i32 s0, s39, 31
	s_lshr_b32 s0, s0, 30
	s_add_i32 s0, s39, s0
	s_ashr_i32 s0, s0, 2
	v_cvt_f32_u32_e32 v1, s0
	s_sub_i32 s1, 0, s0
	v_rcp_iflag_f32_e32 v1, v1
	v_mul_f32_e32 v1, 0x4f7ffffe, v1
	v_cvt_u32_f32_e32 v1, v1
	v_readfirstlane_b32 s2, v1
	s_mul_i32 s1, s1, s2
	s_mul_hi_u32 s1, s2, s1
	s_add_i32 s2, s2, s1
	s_mul_hi_u32 s1, s8, s2
	s_mul_i32 s2, s1, s0
	s_sub_i32 s2, s8, s2
	s_add_i32 s3, s1, 1
	s_sub_i32 s9, s2, s0
	s_cmp_ge_u32 s2, s0
	s_cselect_b32 s1, s3, s1
	s_cselect_b32 s2, s9, s2
	s_add_i32 s3, s1, 1
	s_cmp_ge_u32 s2, s0
	s_cselect_b32 s33, s3, s1
	s_abs_i32 s0, s35
	v_cvt_f32_u32_e32 v1, s0
	s_lshl_b32 s1, s8, 2
	s_mul_i32 s8, s33, s39
	s_xor_b32 s2, s39, s35
	v_rcp_iflag_f32_e32 v1, v1
	s_sub_i32 s9, 0, s0
	s_sub_i32 s35, s1, s8
	s_abs_i32 s3, s39
	v_mul_f32_e32 v1, 0x4f7ffffe, v1
	v_cvt_u32_f32_e32 v1, v1
	s_ashr_i32 s2, s2, 31
	v_readfirstlane_b32 s1, v1
	s_mul_i32 s9, s9, s1
	s_mul_hi_u32 s8, s1, s9
	s_add_i32 s1, s1, s8
	s_mul_hi_u32 s1, s3, s1
	s_mul_i32 s8, s1, s0
	s_sub_i32 s3, s3, s8
	s_add_i32 s9, s1, 1
	s_sub_i32 s8, s3, s0
	s_cmp_ge_u32 s3, s0
	s_cselect_b32 s1, s9, s1
	s_cselect_b32 s3, s8, s3
	s_add_i32 s8, s1, 1
	s_cmp_ge_u32 s3, s0
	s_cselect_b32 s0, s8, s1
	s_xor_b32 s0, s0, s2
	s_sub_i32 s11, s0, s2
	s_abs_i32 s10, s11
	v_cvt_f32_u32_e32 v1, s10
	s_load_dwordx2 s[8:9], s[4:5], 0xb8
	s_cmp_eq_u64 s[22:23], 0
	v_rcp_iflag_f32_e32 v1, v1
	v_mul_f32_e32 v1, 0x4f7ffffe, v1
	v_cvt_u32_f32_e32 v1, v1
	v_readfirstlane_b32 s12, v1
	s_cbranch_scc1 .LBB13_2
; %bb.1:
	s_waitcnt lgkmcnt(0)
	s_abs_i32 s2, s8
	v_cvt_f32_u32_e32 v1, s2
	s_sub_i32 s13, 0, s2
	s_abs_i32 s8, s33
	s_ashr_i32 s3, s33, 31
	v_rcp_iflag_f32_e32 v1, v1
	s_load_dwordx2 s[0:1], s[4:5], 0xc8
	v_mul_f32_e32 v1, 0x4f7ffffe, v1
	v_cvt_u32_f32_e32 v1, v1
	v_readfirstlane_b32 s14, v1
	s_mul_i32 s13, s13, s14
	s_mul_hi_u32 s13, s14, s13
	s_add_i32 s14, s14, s13
	s_mul_hi_u32 s13, s8, s14
	s_mul_i32 s13, s13, s2
	s_sub_i32 s8, s8, s13
	s_sub_i32 s13, s8, s2
	s_cmp_ge_u32 s8, s2
	s_cselect_b32 s8, s13, s8
	s_sub_i32 s13, s8, s2
	s_cmp_ge_u32 s8, s2
	s_cselect_b32 s2, s13, s8
	s_xor_b32 s2, s2, s3
	s_sub_i32 s2, s2, s3
	s_ashr_i32 s3, s2, 31
	s_waitcnt lgkmcnt(0)
	s_mul_i32 s1, s2, s1
	s_mul_hi_u32 s8, s2, s0
	s_add_i32 s1, s8, s1
	s_mul_i32 s3, s3, s0
	s_add_i32 s1, s1, s3
	s_mul_i32 s2, s2, s0
	s_add_u32 s40, s22, s2
	s_addc_u32 s41, s23, s1
.LBB13_2:
	s_load_dwordx4 s[0:3], s[4:5], 0x70
	v_bfe_u32 v1, v0, 10, 10
	v_lshrrev_b32_e32 v2, 1, v1
	v_lshl_add_u32 v21, s6, 3, v2
	v_mul_hi_u32 v2, s36, v21
	s_waitcnt lgkmcnt(0)
	s_mul_i32 s2, s33, s2
	s_ashr_i32 s8, s2, 31
	s_mul_i32 s3, s35, s1
	s_add_u32 s2, s16, s2
	s_addc_u32 s8, s17, s8
	s_ashr_i32 s13, s3, 31
	v_add_u32_e32 v2, v21, v2
	s_add_u32 s14, s2, s3
	v_lshrrev_b32_e32 v2, s37, v2
	s_addc_u32 s8, s8, s13
	v_mul_lo_u32 v2, v2, s38
	s_ashr_i32 s15, s0, 31
	v_mov_b32_e32 v4, s0
	v_sub_u32_e32 v2, v21, v2
	v_alignbit_b32 v4, s15, v4, 2
	v_mad_u64_u32 v[4:5], s[2:3], v4, v2, 0
	v_mov_b32_e32 v6, v5
	s_lshr_b32 s0, s15, 2
	v_mad_u64_u32 v[6:7], s[2:3], s0, v2, v[6:7]
	v_mov_b32_e32 v5, v6
	v_lshlrev_b64 v[4:5], 2, v[4:5]
	v_and_b32_e32 v20, 0x3ff, v0
	v_mov_b32_e32 v0, s8
	v_add_co_u32_e32 v4, vcc, s14, v4
	v_addc_co_u32_e32 v0, vcc, v0, v5, vcc
	v_lshlrev_b32_e32 v5, 4, v20
	v_lshlrev_b32_e32 v3, 1, v1
	s_ashr_i32 s13, s1, 31
	v_add_co_u32_e32 v26, vcc, v4, v5
	v_mov_b32_e32 v4, s1
	v_and_b32_e32 v33, 2, v3
	s_lshr_b32 s2, s13, 2
	v_alignbit_b32 v24, s13, v4, 2
	v_addc_co_u32_e32 v27, vcc, 0, v0, vcc
	v_mul_lo_u32 v0, s2, v33
	v_mad_u64_u32 v[4:5], s[0:1], v24, v33, 0
	v_or_b32_e32 v5, v5, v0
	v_lshlrev_b64 v[4:5], 2, v[4:5]
	v_add_co_u32_e32 v22, vcc, v26, v4
	v_addc_co_u32_e32 v23, vcc, v27, v5, vcc
	global_load_dwordx4 v[4:7], v[22:23], off
	global_load_dwordx4 v[8:11], v[22:23], off offset:512
	global_load_dwordx4 v[12:15], v[22:23], off offset:1024
	;; [unrolled: 1-line block ×3, first 2 shown]
	v_or_b32_e32 v3, 1, v3
	v_and_b32_e32 v25, 3, v3
	v_mad_u64_u32 v[22:23], s[0:1], v24, v25, 0
	v_mov_b32_e32 v0, v23
	v_mad_u64_u32 v[24:25], s[0:1], s2, v25, v[0:1]
	v_mov_b32_e32 v23, v24
	v_lshlrev_b64 v[22:23], 2, v[22:23]
	v_add_co_u32_e32 v30, vcc, v26, v22
	v_addc_co_u32_e32 v31, vcc, v27, v23, vcc
	global_load_dwordx4 v[22:25], v[30:31], off
	global_load_dwordx4 v[26:29], v[30:31], off offset:512
	global_load_dwordx4 v[34:37], v[30:31], off offset:1024
	;; [unrolled: 1-line block ×3, first 2 shown]
	s_load_dword s0, s[4:5], 0x40
	s_mov_b32 s1, 0
	v_lshlrev_b32_e32 v30, 1, v20
	v_lshlrev_b32_e32 v0, 9, v1
	v_add_lshl_u32 v31, v0, v30, 2
	v_lshlrev_b32_e32 v3, 8, v3
	v_add_lshl_u32 v3, v3, v30, 2
	s_cmp_eq_u64 s[26:27], 0
	s_waitcnt vmcnt(7) lgkmcnt(0)
	v_pk_mul_f32 v[4:5], v[4:5], s[0:1] op_sel_hi:[1,0]
	v_pk_mul_f32 v[6:7], v[6:7], s[0:1] op_sel_hi:[1,0]
	s_waitcnt vmcnt(6)
	v_pk_mul_f32 v[8:9], v[8:9], s[0:1] op_sel_hi:[1,0]
	v_pk_mul_f32 v[10:11], v[10:11], s[0:1] op_sel_hi:[1,0]
	v_cvt_f16_f32_e32 v32, v5
	v_cvt_f16_f32_e32 v4, v4
	;; [unrolled: 1-line block ×8, first 2 shown]
	s_waitcnt vmcnt(5)
	v_pk_mul_f32 v[12:13], v[12:13], s[0:1] op_sel_hi:[1,0]
	v_pk_mul_f32 v[14:15], v[14:15], s[0:1] op_sel_hi:[1,0]
	s_waitcnt vmcnt(4)
	v_pk_mul_f32 v[16:17], v[16:17], s[0:1] op_sel_hi:[1,0]
	v_pk_mul_f32 v[18:19], v[18:19], s[0:1] op_sel_hi:[1,0]
	v_pack_b32_f16 v5, v6, v5
	v_pack_b32_f16 v4, v4, v32
	;; [unrolled: 1-line block ×4, first 2 shown]
	v_cvt_f16_f32_e32 v11, v13
	v_cvt_f16_f32_e32 v12, v12
	;; [unrolled: 1-line block ×6, first 2 shown]
	ds_write2_b64 v31, v[4:5], v[6:7] offset1:32
	v_cvt_f16_f32_e32 v6, v18
	v_cvt_f16_f32_e32 v8, v16
	v_pack_b32_f16 v5, v14, v13
	v_pack_b32_f16 v4, v12, v11
	v_pack_b32_f16 v7, v6, v17
	v_pack_b32_f16 v6, v8, v15
	ds_write2_b64 v31, v[4:5], v[6:7] offset0:64 offset1:96
	s_waitcnt vmcnt(3)
	v_pk_mul_f32 v[4:5], v[22:23], s[0:1] op_sel_hi:[1,0]
	v_cvt_f16_f32_e32 v8, v5
	v_cvt_f16_f32_e32 v9, v4
	v_pk_mul_f32 v[4:5], v[24:25], s[0:1] op_sel_hi:[1,0]
	v_cvt_f16_f32_e32 v10, v5
	v_cvt_f16_f32_e32 v11, v4
	s_waitcnt vmcnt(2)
	v_pk_mul_f32 v[4:5], v[26:27], s[0:1] op_sel_hi:[1,0]
	v_pk_mul_f32 v[6:7], v[28:29], s[0:1] op_sel_hi:[1,0]
	v_cvt_f16_f32_e32 v12, v5
	v_cvt_f16_f32_e32 v7, v7
	;; [unrolled: 1-line block ×4, first 2 shown]
	v_pack_b32_f16 v5, v11, v10
	v_pack_b32_f16 v4, v9, v8
	;; [unrolled: 1-line block ×4, first 2 shown]
	ds_write2_b64 v3, v[4:5], v[6:7] offset1:32
	s_waitcnt vmcnt(1)
	v_pk_mul_f32 v[4:5], v[34:35], s[0:1] op_sel_hi:[1,0]
	v_cvt_f16_f32_e32 v8, v5
	v_cvt_f16_f32_e32 v9, v4
	v_pk_mul_f32 v[4:5], v[36:37], s[0:1] op_sel_hi:[1,0]
	v_cvt_f16_f32_e32 v10, v5
	v_cvt_f16_f32_e32 v11, v4
	s_waitcnt vmcnt(0)
	v_pk_mul_f32 v[4:5], v[38:39], s[0:1] op_sel_hi:[1,0]
	v_pk_mul_f32 v[6:7], v[40:41], s[0:1] op_sel_hi:[1,0]
	v_cvt_f16_f32_e32 v12, v5
	v_cvt_f16_f32_e32 v7, v7
	;; [unrolled: 1-line block ×4, first 2 shown]
	v_pack_b32_f16 v5, v11, v10
	v_pack_b32_f16 v4, v9, v8
	;; [unrolled: 1-line block ×4, first 2 shown]
	ds_write2_b64 v3, v[4:5], v[6:7] offset0:64 offset1:96
	s_waitcnt lgkmcnt(0)
	s_barrier
	s_cbranch_scc1 .LBB13_4
; %bb.3:
	s_load_dword s0, s[4:5], 0xd0
	s_waitcnt lgkmcnt(0)
	s_mul_i32 s0, s0, s33
	s_add_i32 s0, s0, s6
	s_lshl_b64 s[0:1], s[0:1], 2
	s_add_u32 s0, s26, s0
	s_addc_u32 s1, s27, s1
	s_load_dword s34, s[0:1], 0x0
.LBB13_4:
	s_lshl_b32 s26, s7, 7
	v_lshlrev_b32_e32 v61, 2, v20
	s_waitcnt lgkmcnt(0)
	s_cmp_lt_i32 s26, s34
	v_mbcnt_lo_u32_b32 v3, -1, 0
	s_cbranch_scc1 .LBB13_6
; %bb.5:
	v_mbcnt_hi_u32_b32 v25, -1, v3
	v_and_b32_e32 v4, 0x60, v25
	s_mov_b32 s0, 0xfeffffff
	s_mov_b32 s6, 0
	v_add_u32_e32 v62, 32, v4
	v_xor_b32_e32 v67, 16, v25
	v_xor_b32_e32 v66, 8, v25
	;; [unrolled: 1-line block ×5, first 2 shown]
	s_mov_b32 s1, s0
	s_mov_b64 s[2:3], 0
	s_branch .LBB13_7
.LBB13_6:
	s_mov_b64 s[2:3], -1
                                        ; implicit-def: $sgpr6
                                        ; implicit-def: $sgpr0_sgpr1
                                        ; implicit-def: $vgpr25
                                        ; implicit-def: $vgpr62
                                        ; implicit-def: $vgpr67
                                        ; implicit-def: $vgpr66
                                        ; implicit-def: $vgpr65
                                        ; implicit-def: $vgpr64
                                        ; implicit-def: $vgpr63
.LBB13_7:
	s_andn2_b64 vcc, exec, s[2:3]
	v_mov_b32_e32 v23, s6
	v_mov_b32_e32 v98, s6
	v_pk_mov_b32 v[34:35], s[0:1], s[0:1] op_sel:[0,1]
	v_mov_b32_e32 v97, s6
	v_mov_b32_e32 v22, s6
	;; [unrolled: 1-line block ×16, first 2 shown]
	s_cbranch_vccnz .LBB13_10
; %bb.8:
	s_sub_i32 s0, 0, s10
	s_mul_i32 s0, s0, s12
	s_mul_hi_u32 s0, s12, s0
	s_add_i32 s8, s12, s0
	s_load_dwordx2 s[12:13], s[4:5], 0x8c
	s_load_dwordx4 s[0:3], s[4:5], 0x98
	s_abs_i32 s6, s35
	s_mul_hi_u32 s8, s6, s8
	s_ashr_i32 s16, s35, 31
	s_waitcnt lgkmcnt(0)
	s_ashr_i32 s36, s12, 2
	s_ashr_i32 s27, s2, 2
	;; [unrolled: 1-line block ×4, first 2 shown]
	s_mul_i32 s1, s33, s1
	s_mul_hi_u32 s12, s33, s0
	s_add_i32 s1, s12, s1
	s_mul_i32 s12, s9, s0
	s_ashr_i32 s11, s11, 31
	s_add_i32 s1, s1, s12
	s_mul_i32 s0, s33, s0
	s_add_u32 s0, s18, s0
	s_mul_i32 s12, s8, s10
	s_addc_u32 s1, s19, s1
	s_sub_i32 s6, s6, s12
	s_xor_b32 s11, s16, s11
	s_add_i32 s12, s8, 1
	s_sub_i32 s16, s6, s10
	s_cmp_ge_u32 s6, s10
	s_cselect_b32 s8, s12, s8
	s_cselect_b32 s6, s16, s6
	s_add_i32 s12, s8, 1
	s_cmp_ge_u32 s6, s10
	s_cselect_b32 s6, s12, s8
	s_load_dwordx2 s[14:15], s[4:5], 0xa8
	s_xor_b32 s6, s6, s11
	s_sub_i32 s6, s6, s11
	s_mul_i32 s8, s6, s13
	s_ashr_i32 s10, s8, 31
	s_add_u32 s37, s0, s8
	s_addc_u32 s42, s1, s10
	s_waitcnt lgkmcnt(0)
	s_mul_i32 s0, s33, s15
	s_mul_hi_u32 s1, s33, s14
	s_add_i32 s0, s1, s0
	s_mul_i32 s9, s9, s14
	s_add_i32 s0, s0, s9
	s_mul_i32 s1, s33, s14
	s_add_u32 s1, s20, s1
	s_mul_i32 s6, s6, s3
	s_addc_u32 s0, s21, s0
	s_ashr_i32 s3, s6, 31
	v_lshrrev_b32_e32 v4, 3, v20
	s_add_u32 s6, s1, s6
	v_lshl_add_u32 v5, v1, 2, v4
	v_and_b32_e32 v4, 28, v61
	s_addc_u32 s3, s0, s3
	v_lshlrev_b32_e32 v6, 2, v4
	s_movk_i32 s0, 0x90
	v_mad_u32_u24 v8, v5, s0, v6
	v_add_u32_e32 v68, 0x8000, v8
	v_add_u32_e32 v69, 0xa400, v8
	v_mov_b32_e32 v8, 0x8010
	v_mad_u32_u24 v72, v20, s0, v8
	v_mov_b32_e32 v8, 0x8020
	v_mad_u32_u24 v73, v20, s0, v8
	;; [unrolled: 2-line block ×5, first 2 shown]
	v_mov_b32_e32 v8, 0x8060
	v_mul_lo_u32 v6, s36, v5
	v_mov_b32_e32 v5, 0x8000
	v_mad_u32_u24 v77, v20, s0, v8
	v_mov_b32_e32 v8, 0x8070
	v_mad_u32_u24 v70, v20, s0, v5
	v_mad_u32_u24 v78, v20, s0, v8
	v_mad_u64_u32 v[24:25], s[0:1], v2, s2, v[20:21]
	v_add_u32_e32 v79, 0xc800, v0
	v_lshlrev_b32_e32 v2, 2, v61
	v_mul_lo_u32 v0, s27, v1
	v_lshlrev_b32_e32 v71, 11, v1
	v_lshl_add_u32 v8, v1, 10, v2
	v_ashrrev_i32_e32 v1, 31, v0
	v_lshlrev_b64 v[0:1], 2, v[0:1]
	v_mov_b32_e32 v12, s3
	v_add_co_u32_e32 v0, vcc, s6, v0
	v_lshl_add_u32 v10, s36, 6, v6
	v_addc_co_u32_e32 v1, vcc, v12, v1, vcc
	v_mbcnt_hi_u32_b32 v25, -1, v3
	v_mov_b32_e32 v9, 0
	v_ashrrev_i32_e32 v7, 31, v6
	v_ashrrev_i32_e32 v11, 31, v10
	v_lshl_or_b32 v82, v20, 3, v5
	s_add_u32 s22, s4, 0xd0
	v_add_co_u32_e32 v83, vcc, v0, v2
	v_mov_b32_e32 v30, 0xfeffffff
	v_and_b32_e32 v0, 0x60, v25
	v_add_u32_e32 v80, 0x8000, v8
	v_add_u32_e32 v81, 0x8200, v8
	s_addc_u32 s23, s5, 0
	v_addc_co_u32_e32 v84, vcc, 0, v1, vcc
	v_lshlrev_b64 v[26:27], 2, v[6:7]
	v_lshlrev_b32_e32 v85, 2, v4
	v_lshlrev_b64 v[28:29], 2, v[10:11]
	v_add_u32_e32 v62, 32, v0
	v_xor_b32_e32 v67, 16, v25
	v_xor_b32_e32 v66, 8, v25
	;; [unrolled: 1-line block ×5, first 2 shown]
	v_mov_b32_e32 v86, s41
	s_mov_b32 s6, 0x40051340
	s_mov_b32 s41, 0x3fb8aa3b
	;; [unrolled: 1-line block ×4, first 2 shown]
	v_mov_b32_e32 v87, 0x7f800000
	v_add_u32_e32 v88, v79, v61
	v_add_u32_e32 v89, 0x800, v82
	;; [unrolled: 1-line block ×8, first 2 shown]
	v_mov_b32_e32 v97, 0
	v_mov_b32_e32 v8, 0
	v_mov_b32_e32 v11, 0
	v_mov_b32_e32 v10, 0
	v_mov_b32_e32 v13, 0
	v_mov_b32_e32 v12, 0
	v_mov_b32_e32 v15, 0
	v_mov_b32_e32 v14, 0
	v_mov_b32_e32 v96, 0
	v_mov_b32_e32 v16, 0
	v_mov_b32_e32 v17, 0
	v_mov_b32_e32 v18, 0
	v_mov_b32_e32 v19, 0
	v_mov_b32_e32 v32, 0
	v_mov_b32_e32 v98, 0
	v_mov_b32_e32 v31, v30
	v_mov_b32_e32 v22, 0
	v_mov_b32_e32 v23, v9
.LBB13_9:                               ; =>This Inner Loop Header: Depth=1
	v_cmp_lt_i32_e32 vcc, v67, v62
	v_cndmask_b32_e32 v1, v25, v67, vcc
	v_cmp_lt_i32_e32 vcc, v66, v62
	v_add_u32_e32 v0, s26, v24
	v_cndmask_b32_e32 v2, v25, v66, vcc
	v_cmp_lt_i32_e32 vcc, v65, v62
	s_mul_hi_i32 s1, s26, s36
	s_mul_i32 s0, s26, s36
	v_cndmask_b32_e32 v3, v25, v65, vcc
	v_cmp_lt_i32_e32 vcc, v64, v62
	v_lshlrev_b32_e32 v102, 2, v1
	v_ashrrev_i32_e32 v1, 31, v0
	v_cndmask_b32_e32 v4, v25, v64, vcc
	v_cmp_lt_i32_e32 vcc, v63, v62
	s_lshl_b64 s[0:1], s[0:1], 2
	v_lshlrev_b64 v[0:1], 1, v[0:1]
	v_cndmask_b32_e32 v5, v25, v63, vcc
	s_mul_hi_i32 s9, s26, s27
	s_mul_i32 s8, s26, s27
	s_add_u32 s2, s37, s0
	v_add_co_u32_e32 v0, vcc, s40, v0
	s_addc_u32 s3, s42, s1
	v_addc_co_u32_e32 v1, vcc, v86, v1, vcc
	s_lshl_b64 s[0:1], s[8:9], 2
	v_lshlrev_b32_e32 v100, 2, v3
	v_lshlrev_b32_e32 v99, 2, v4
	;; [unrolled: 1-line block ×3, first 2 shown]
	v_mov_b32_e32 v3, s3
	v_add_co_u32_e32 v4, vcc, s2, v28
	v_mov_b32_e32 v5, s1
	v_add_co_u32_e64 v56, s[0:1], s0, v83
	v_lshlrev_b32_e32 v101, 2, v2
	v_mov_b32_e32 v2, s3
	v_add_co_u32_e64 v6, s[2:3], s2, v26
	v_addc_co_u32_e32 v3, vcc, v3, v29, vcc
	v_addc_co_u32_e64 v57, s[0:1], v84, v5, s[0:1]
	v_addc_co_u32_e64 v7, s[2:3], v2, v27, s[2:3]
	v_add_co_u32_e32 v2, vcc, v4, v85
	v_add_co_u32_e64 v4, s[0:1], v6, v85
	v_addc_co_u32_e64 v5, s[0:1], 0, v7, s[0:1]
	v_addc_co_u32_e32 v3, vcc, 0, v3, vcc
	global_load_dwordx4 v[104:107], v[4:5], off
	global_load_dwordx4 v[108:111], v[2:3], off
	v_mov_b32_e32 v34, 0
	v_mov_b32_e32 v36, 0
	;; [unrolled: 1-line block ×8, first 2 shown]
	s_or_b32 s8, s26, 16
	s_or_b32 s9, s26, 32
	;; [unrolled: 1-line block ×7, first 2 shown]
	s_mul_hi_i32 s15, s8, s27
	s_mul_i32 s14, s8, s27
	s_mul_hi_i32 s17, s9, s27
	s_mul_i32 s16, s9, s27
	;; [unrolled: 2-line block ×7, first 2 shown]
	s_lshl_b64 s[2:3], s[14:15], 2
	s_lshl_b64 s[14:15], s[16:17], 2
	;; [unrolled: 1-line block ×6, first 2 shown]
	v_mov_b32_e32 v6, s3
	v_add_co_u32_e32 v54, vcc, s2, v83
	s_waitcnt vmcnt(1)
	ds_write_b128 v68, v[104:107]
	s_waitcnt vmcnt(0)
	ds_write_b128 v69, v[108:111]
	s_waitcnt lgkmcnt(0)
	s_barrier
	ds_read_b128 v[104:107], v71
	ds_read_b128 v[108:111], v70
	ds_read_b128 v[112:115], v70 offset:4608
	ds_read_b128 v[116:119], v70 offset:9216
	;; [unrolled: 1-line block ×4, first 2 shown]
	s_waitcnt lgkmcnt(4)
	;;#ASMSTART
	v_dot2_f32_f16 v34, v108, v104, v34
	;;#ASMEND
	;;#ASMSTART
	v_dot2_f32_f16 v34, v109, v105, v34
	;;#ASMEND
	;; [unrolled: 3-line block ×4, first 2 shown]
	s_waitcnt lgkmcnt(0)
	;;#ASMSTART
	v_dot2_f32_f16 v36, v108, v124, v36
	;;#ASMEND
	;;#ASMSTART
	v_dot2_f32_f16 v36, v109, v125, v36
	;;#ASMEND
	;; [unrolled: 3-line block ×28, first 2 shown]
	ds_read_b128 v[104:107], v71 offset:16
	ds_read_b128 v[108:111], v70 offset:16
	;; [unrolled: 1-line block ×6, first 2 shown]
	s_waitcnt lgkmcnt(4)
	;;#ASMSTART
	v_dot2_f32_f16 v34, v108, v104, v34
	;;#ASMEND
	;;#ASMSTART
	v_dot2_f32_f16 v34, v109, v105, v34
	;;#ASMEND
	;; [unrolled: 3-line block ×4, first 2 shown]
	s_waitcnt lgkmcnt(0)
	;;#ASMSTART
	v_dot2_f32_f16 v36, v108, v124, v36
	;;#ASMEND
	;;#ASMSTART
	v_dot2_f32_f16 v36, v109, v125, v36
	;;#ASMEND
	;; [unrolled: 3-line block ×28, first 2 shown]
	ds_read_b128 v[104:107], v71 offset:32
	ds_read_b128 v[108:111], v70 offset:32
	;; [unrolled: 1-line block ×6, first 2 shown]
	s_waitcnt lgkmcnt(4)
	;;#ASMSTART
	v_dot2_f32_f16 v34, v108, v104, v34
	;;#ASMEND
	;;#ASMSTART
	v_dot2_f32_f16 v34, v109, v105, v34
	;;#ASMEND
	;; [unrolled: 3-line block ×4, first 2 shown]
	s_waitcnt lgkmcnt(0)
	;;#ASMSTART
	v_dot2_f32_f16 v36, v108, v124, v36
	;;#ASMEND
	;;#ASMSTART
	v_dot2_f32_f16 v36, v109, v125, v36
	;;#ASMEND
	;;#ASMSTART
	v_dot2_f32_f16 v36, v110, v126, v36
	;;#ASMEND
	;;#ASMSTART
	v_dot2_f32_f16 v36, v111, v127, v36
	;;#ASMEND
	;;#ASMSTART
	v_dot2_f32_f16 v35, v112, v104, v35
	;;#ASMEND
	;;#ASMSTART
	v_dot2_f32_f16 v35, v113, v105, v35
	;;#ASMEND
	;;#ASMSTART
	v_dot2_f32_f16 v35, v114, v106, v35
	;;#ASMEND
	;;#ASMSTART
	v_dot2_f32_f16 v35, v115, v107, v35
	;;#ASMEND
	;;#ASMSTART
	v_dot2_f32_f16 v37, v112, v124, v37
	;;#ASMEND
	;;#ASMSTART
	v_dot2_f32_f16 v37, v113, v125, v37
	;;#ASMEND
	;;#ASMSTART
	v_dot2_f32_f16 v37, v114, v126, v37
	;;#ASMEND
	;;#ASMSTART
	v_dot2_f32_f16 v37, v115, v127, v37
	;;#ASMEND
	;;#ASMSTART
	v_dot2_f32_f16 v38, v116, v104, v38
	;;#ASMEND
	;;#ASMSTART
	v_dot2_f32_f16 v38, v117, v105, v38
	;;#ASMEND
	;;#ASMSTART
	v_dot2_f32_f16 v38, v118, v106, v38
	;;#ASMEND
	;;#ASMSTART
	v_dot2_f32_f16 v38, v119, v107, v38
	;;#ASMEND
	;;#ASMSTART
	v_dot2_f32_f16 v39, v116, v124, v39
	;;#ASMEND
	;;#ASMSTART
	v_dot2_f32_f16 v39, v117, v125, v39
	;;#ASMEND
	;;#ASMSTART
	v_dot2_f32_f16 v39, v118, v126, v39
	;;#ASMEND
	;;#ASMSTART
	v_dot2_f32_f16 v39, v119, v127, v39
	;;#ASMEND
	;;#ASMSTART
	v_dot2_f32_f16 v40, v120, v104, v40
	;;#ASMEND
	;;#ASMSTART
	v_dot2_f32_f16 v40, v121, v105, v40
	;;#ASMEND
	;;#ASMSTART
	v_dot2_f32_f16 v40, v122, v106, v40
	;;#ASMEND
	;;#ASMSTART
	v_dot2_f32_f16 v40, v123, v107, v40
	;;#ASMEND
	;;#ASMSTART
	v_dot2_f32_f16 v41, v120, v124, v41
	;;#ASMEND
	;;#ASMSTART
	v_dot2_f32_f16 v41, v121, v125, v41
	;;#ASMEND
	;;#ASMSTART
	v_dot2_f32_f16 v41, v122, v126, v41
	;;#ASMEND
	;;#ASMSTART
	v_dot2_f32_f16 v41, v123, v127, v41
	;;#ASMEND
	ds_read_b128 v[104:107], v71 offset:48
	ds_read_b128 v[108:111], v70 offset:48
	;; [unrolled: 1-line block ×6, first 2 shown]
	s_waitcnt lgkmcnt(4)
	;;#ASMSTART
	v_dot2_f32_f16 v34, v108, v104, v34
	;;#ASMEND
	;;#ASMSTART
	v_dot2_f32_f16 v34, v109, v105, v34
	;;#ASMEND
	;; [unrolled: 3-line block ×4, first 2 shown]
	s_waitcnt lgkmcnt(0)
	;;#ASMSTART
	v_dot2_f32_f16 v36, v108, v124, v36
	;;#ASMEND
	;;#ASMSTART
	v_dot2_f32_f16 v36, v109, v125, v36
	;;#ASMEND
	;; [unrolled: 3-line block ×28, first 2 shown]
	ds_read_b128 v[104:107], v71 offset:64
	ds_read_b128 v[108:111], v70 offset:64
	;; [unrolled: 1-line block ×6, first 2 shown]
	s_waitcnt lgkmcnt(4)
	;;#ASMSTART
	v_dot2_f32_f16 v34, v108, v104, v34
	;;#ASMEND
	;;#ASMSTART
	v_dot2_f32_f16 v34, v109, v105, v34
	;;#ASMEND
	;; [unrolled: 3-line block ×4, first 2 shown]
	s_waitcnt lgkmcnt(0)
	;;#ASMSTART
	v_dot2_f32_f16 v36, v108, v124, v36
	;;#ASMEND
	;;#ASMSTART
	v_dot2_f32_f16 v36, v109, v125, v36
	;;#ASMEND
	;; [unrolled: 3-line block ×28, first 2 shown]
	ds_read_b128 v[104:107], v71 offset:80
	ds_read_b128 v[108:111], v70 offset:80
	;; [unrolled: 1-line block ×6, first 2 shown]
	s_waitcnt lgkmcnt(4)
	;;#ASMSTART
	v_dot2_f32_f16 v34, v108, v104, v34
	;;#ASMEND
	;;#ASMSTART
	v_dot2_f32_f16 v34, v109, v105, v34
	;;#ASMEND
	;; [unrolled: 3-line block ×4, first 2 shown]
	s_waitcnt lgkmcnt(0)
	;;#ASMSTART
	v_dot2_f32_f16 v36, v108, v124, v36
	;;#ASMEND
	;;#ASMSTART
	v_dot2_f32_f16 v36, v109, v125, v36
	;;#ASMEND
	;; [unrolled: 3-line block ×28, first 2 shown]
	ds_read_b128 v[104:107], v71 offset:96
	ds_read_b128 v[108:111], v70 offset:96
	;; [unrolled: 1-line block ×6, first 2 shown]
	s_waitcnt lgkmcnt(4)
	;;#ASMSTART
	v_dot2_f32_f16 v34, v108, v104, v34
	;;#ASMEND
	;;#ASMSTART
	v_dot2_f32_f16 v34, v109, v105, v34
	;;#ASMEND
	;; [unrolled: 3-line block ×4, first 2 shown]
	s_waitcnt lgkmcnt(0)
	;;#ASMSTART
	v_dot2_f32_f16 v36, v108, v124, v36
	;;#ASMEND
	;;#ASMSTART
	v_dot2_f32_f16 v36, v109, v125, v36
	;;#ASMEND
	;; [unrolled: 3-line block ×28, first 2 shown]
	ds_read_b128 v[104:107], v71 offset:112
	ds_read_b128 v[108:111], v70 offset:112
	;; [unrolled: 1-line block ×6, first 2 shown]
	s_waitcnt lgkmcnt(4)
	;;#ASMSTART
	v_dot2_f32_f16 v34, v108, v104, v34
	;;#ASMEND
	;;#ASMSTART
	v_dot2_f32_f16 v34, v109, v105, v34
	;;#ASMEND
	;; [unrolled: 3-line block ×4, first 2 shown]
	s_waitcnt lgkmcnt(0)
	;;#ASMSTART
	v_dot2_f32_f16 v36, v108, v124, v36
	;;#ASMEND
	;;#ASMSTART
	v_dot2_f32_f16 v36, v109, v125, v36
	;;#ASMEND
	;; [unrolled: 3-line block ×28, first 2 shown]
	s_barrier
	global_load_dwordx4 v[104:107], v[4:5], off offset:128
	global_load_dwordx4 v[108:111], v[2:3], off offset:128
	s_waitcnt vmcnt(1)
	ds_write_b128 v68, v[104:107]
	s_waitcnt vmcnt(0)
	ds_write_b128 v69, v[108:111]
	s_waitcnt lgkmcnt(0)
	s_barrier
	ds_read_b128 v[104:107], v71 offset:128
	ds_read_b128 v[108:111], v70
	ds_read_b128 v[112:115], v70 offset:4608
	ds_read_b128 v[116:119], v70 offset:9216
	;; [unrolled: 1-line block ×4, first 2 shown]
	s_waitcnt lgkmcnt(4)
	;;#ASMSTART
	v_dot2_f32_f16 v34, v108, v104, v34
	;;#ASMEND
	;;#ASMSTART
	v_dot2_f32_f16 v34, v109, v105, v34
	;;#ASMEND
	;; [unrolled: 3-line block ×4, first 2 shown]
	s_waitcnt lgkmcnt(0)
	;;#ASMSTART
	v_dot2_f32_f16 v36, v108, v124, v36
	;;#ASMEND
	;;#ASMSTART
	v_dot2_f32_f16 v36, v109, v125, v36
	;;#ASMEND
	;; [unrolled: 3-line block ×28, first 2 shown]
	ds_read_b128 v[104:107], v71 offset:144
	ds_read_b128 v[108:111], v70 offset:16
	;; [unrolled: 1-line block ×6, first 2 shown]
	s_waitcnt lgkmcnt(4)
	;;#ASMSTART
	v_dot2_f32_f16 v34, v108, v104, v34
	;;#ASMEND
	;;#ASMSTART
	v_dot2_f32_f16 v34, v109, v105, v34
	;;#ASMEND
	;;#ASMSTART
	v_dot2_f32_f16 v34, v110, v106, v34
	;;#ASMEND
	;;#ASMSTART
	v_dot2_f32_f16 v34, v111, v107, v34
	;;#ASMEND
	s_waitcnt lgkmcnt(0)
	;;#ASMSTART
	v_dot2_f32_f16 v36, v108, v124, v36
	;;#ASMEND
	;;#ASMSTART
	v_dot2_f32_f16 v36, v109, v125, v36
	;;#ASMEND
	;; [unrolled: 3-line block ×28, first 2 shown]
	ds_read_b128 v[104:107], v71 offset:160
	ds_read_b128 v[108:111], v70 offset:32
	;; [unrolled: 1-line block ×6, first 2 shown]
	s_waitcnt lgkmcnt(4)
	;;#ASMSTART
	v_dot2_f32_f16 v34, v108, v104, v34
	;;#ASMEND
	;;#ASMSTART
	v_dot2_f32_f16 v34, v109, v105, v34
	;;#ASMEND
	;; [unrolled: 3-line block ×4, first 2 shown]
	s_waitcnt lgkmcnt(0)
	;;#ASMSTART
	v_dot2_f32_f16 v36, v108, v124, v36
	;;#ASMEND
	;;#ASMSTART
	v_dot2_f32_f16 v36, v109, v125, v36
	;;#ASMEND
	;; [unrolled: 3-line block ×28, first 2 shown]
	ds_read_b128 v[104:107], v71 offset:176
	ds_read_b128 v[108:111], v70 offset:48
	;; [unrolled: 1-line block ×6, first 2 shown]
	s_waitcnt lgkmcnt(4)
	;;#ASMSTART
	v_dot2_f32_f16 v34, v108, v104, v34
	;;#ASMEND
	;;#ASMSTART
	v_dot2_f32_f16 v34, v109, v105, v34
	;;#ASMEND
	;; [unrolled: 3-line block ×4, first 2 shown]
	s_waitcnt lgkmcnt(0)
	;;#ASMSTART
	v_dot2_f32_f16 v36, v108, v124, v36
	;;#ASMEND
	;;#ASMSTART
	v_dot2_f32_f16 v36, v109, v125, v36
	;;#ASMEND
	;; [unrolled: 3-line block ×28, first 2 shown]
	ds_read_b128 v[104:107], v71 offset:192
	ds_read_b128 v[108:111], v70 offset:64
	;; [unrolled: 1-line block ×6, first 2 shown]
	s_waitcnt lgkmcnt(4)
	;;#ASMSTART
	v_dot2_f32_f16 v34, v108, v104, v34
	;;#ASMEND
	;;#ASMSTART
	v_dot2_f32_f16 v34, v109, v105, v34
	;;#ASMEND
	;; [unrolled: 3-line block ×4, first 2 shown]
	s_waitcnt lgkmcnt(0)
	;;#ASMSTART
	v_dot2_f32_f16 v36, v108, v124, v36
	;;#ASMEND
	;;#ASMSTART
	v_dot2_f32_f16 v36, v109, v125, v36
	;;#ASMEND
	;; [unrolled: 3-line block ×28, first 2 shown]
	ds_read_b128 v[104:107], v71 offset:208
	ds_read_b128 v[108:111], v70 offset:80
	;; [unrolled: 1-line block ×6, first 2 shown]
	s_waitcnt lgkmcnt(4)
	;;#ASMSTART
	v_dot2_f32_f16 v34, v108, v104, v34
	;;#ASMEND
	;;#ASMSTART
	v_dot2_f32_f16 v34, v109, v105, v34
	;;#ASMEND
	;; [unrolled: 3-line block ×4, first 2 shown]
	s_waitcnt lgkmcnt(0)
	;;#ASMSTART
	v_dot2_f32_f16 v36, v108, v124, v36
	;;#ASMEND
	;;#ASMSTART
	v_dot2_f32_f16 v36, v109, v125, v36
	;;#ASMEND
	;; [unrolled: 3-line block ×28, first 2 shown]
	ds_read_b128 v[104:107], v71 offset:224
	ds_read_b128 v[108:111], v70 offset:96
	;; [unrolled: 1-line block ×6, first 2 shown]
	s_waitcnt lgkmcnt(4)
	;;#ASMSTART
	v_dot2_f32_f16 v34, v108, v104, v34
	;;#ASMEND
	;;#ASMSTART
	v_dot2_f32_f16 v34, v109, v105, v34
	;;#ASMEND
	;;#ASMSTART
	v_dot2_f32_f16 v34, v110, v106, v34
	;;#ASMEND
	;;#ASMSTART
	v_dot2_f32_f16 v34, v111, v107, v34
	;;#ASMEND
	s_waitcnt lgkmcnt(0)
	;;#ASMSTART
	v_dot2_f32_f16 v36, v108, v124, v36
	;;#ASMEND
	;;#ASMSTART
	v_dot2_f32_f16 v36, v109, v125, v36
	;;#ASMEND
	;; [unrolled: 3-line block ×28, first 2 shown]
	ds_read_b128 v[104:107], v71 offset:240
	ds_read_b128 v[108:111], v70 offset:112
	;; [unrolled: 1-line block ×6, first 2 shown]
	s_waitcnt lgkmcnt(4)
	;;#ASMSTART
	v_dot2_f32_f16 v34, v108, v104, v34
	;;#ASMEND
	;;#ASMSTART
	v_dot2_f32_f16 v34, v109, v105, v34
	;;#ASMEND
	;;#ASMSTART
	v_dot2_f32_f16 v34, v110, v106, v34
	;;#ASMEND
	;;#ASMSTART
	v_dot2_f32_f16 v34, v111, v107, v34
	;;#ASMEND
	s_waitcnt lgkmcnt(0)
	;;#ASMSTART
	v_dot2_f32_f16 v36, v108, v124, v36
	;;#ASMEND
	;;#ASMSTART
	v_dot2_f32_f16 v36, v109, v125, v36
	;;#ASMEND
	;; [unrolled: 3-line block ×28, first 2 shown]
	s_barrier
	global_load_dwordx4 v[104:107], v[4:5], off offset:256
	global_load_dwordx4 v[108:111], v[2:3], off offset:256
	s_waitcnt vmcnt(1)
	ds_write_b128 v68, v[104:107]
	s_waitcnt vmcnt(0)
	ds_write_b128 v69, v[108:111]
	s_waitcnt lgkmcnt(0)
	s_barrier
	ds_read_b128 v[104:107], v71 offset:256
	ds_read_b128 v[108:111], v70
	ds_read_b128 v[112:115], v70 offset:4608
	ds_read_b128 v[116:119], v70 offset:9216
	;; [unrolled: 1-line block ×4, first 2 shown]
	s_waitcnt lgkmcnt(4)
	;;#ASMSTART
	v_dot2_f32_f16 v34, v108, v104, v34
	;;#ASMEND
	;;#ASMSTART
	v_dot2_f32_f16 v34, v109, v105, v34
	;;#ASMEND
	;; [unrolled: 3-line block ×4, first 2 shown]
	s_waitcnt lgkmcnt(0)
	;;#ASMSTART
	v_dot2_f32_f16 v36, v108, v124, v36
	;;#ASMEND
	;;#ASMSTART
	v_dot2_f32_f16 v36, v109, v125, v36
	;;#ASMEND
	;; [unrolled: 3-line block ×28, first 2 shown]
	ds_read_b128 v[104:107], v71 offset:272
	ds_read_b128 v[108:111], v70 offset:16
	;; [unrolled: 1-line block ×6, first 2 shown]
	s_waitcnt lgkmcnt(4)
	;;#ASMSTART
	v_dot2_f32_f16 v34, v108, v104, v34
	;;#ASMEND
	;;#ASMSTART
	v_dot2_f32_f16 v34, v109, v105, v34
	;;#ASMEND
	;; [unrolled: 3-line block ×4, first 2 shown]
	s_waitcnt lgkmcnt(0)
	;;#ASMSTART
	v_dot2_f32_f16 v36, v108, v124, v36
	;;#ASMEND
	;;#ASMSTART
	v_dot2_f32_f16 v36, v109, v125, v36
	;;#ASMEND
	;; [unrolled: 3-line block ×28, first 2 shown]
	ds_read_b128 v[104:107], v71 offset:288
	ds_read_b128 v[108:111], v70 offset:32
	;; [unrolled: 1-line block ×6, first 2 shown]
	s_waitcnt lgkmcnt(4)
	;;#ASMSTART
	v_dot2_f32_f16 v34, v108, v104, v34
	;;#ASMEND
	;;#ASMSTART
	v_dot2_f32_f16 v34, v109, v105, v34
	;;#ASMEND
	;; [unrolled: 3-line block ×4, first 2 shown]
	s_waitcnt lgkmcnt(0)
	;;#ASMSTART
	v_dot2_f32_f16 v36, v108, v124, v36
	;;#ASMEND
	;;#ASMSTART
	v_dot2_f32_f16 v36, v109, v125, v36
	;;#ASMEND
	;; [unrolled: 3-line block ×28, first 2 shown]
	ds_read_b128 v[104:107], v71 offset:304
	ds_read_b128 v[108:111], v70 offset:48
	ds_read_b128 v[112:115], v74 offset:4608
	ds_read_b128 v[116:119], v74 offset:9216
	ds_read_b128 v[120:123], v74 offset:13824
	ds_read_b128 v[124:127], v71 offset:1328
	s_waitcnt lgkmcnt(4)
	;;#ASMSTART
	v_dot2_f32_f16 v34, v108, v104, v34
	;;#ASMEND
	;;#ASMSTART
	v_dot2_f32_f16 v34, v109, v105, v34
	;;#ASMEND
	;; [unrolled: 3-line block ×4, first 2 shown]
	s_waitcnt lgkmcnt(0)
	;;#ASMSTART
	v_dot2_f32_f16 v36, v108, v124, v36
	;;#ASMEND
	;;#ASMSTART
	v_dot2_f32_f16 v36, v109, v125, v36
	;;#ASMEND
	;; [unrolled: 3-line block ×28, first 2 shown]
	ds_read_b128 v[104:107], v71 offset:320
	ds_read_b128 v[108:111], v70 offset:64
	;; [unrolled: 1-line block ×6, first 2 shown]
	s_waitcnt lgkmcnt(4)
	;;#ASMSTART
	v_dot2_f32_f16 v34, v108, v104, v34
	;;#ASMEND
	;;#ASMSTART
	v_dot2_f32_f16 v34, v109, v105, v34
	;;#ASMEND
	;; [unrolled: 3-line block ×4, first 2 shown]
	s_waitcnt lgkmcnt(0)
	;;#ASMSTART
	v_dot2_f32_f16 v36, v108, v124, v36
	;;#ASMEND
	;;#ASMSTART
	v_dot2_f32_f16 v36, v109, v125, v36
	;;#ASMEND
	;; [unrolled: 3-line block ×28, first 2 shown]
	ds_read_b128 v[104:107], v71 offset:336
	ds_read_b128 v[108:111], v70 offset:80
	;; [unrolled: 1-line block ×6, first 2 shown]
	s_waitcnt lgkmcnt(4)
	;;#ASMSTART
	v_dot2_f32_f16 v34, v108, v104, v34
	;;#ASMEND
	;;#ASMSTART
	v_dot2_f32_f16 v34, v109, v105, v34
	;;#ASMEND
	;;#ASMSTART
	v_dot2_f32_f16 v34, v110, v106, v34
	;;#ASMEND
	;;#ASMSTART
	v_dot2_f32_f16 v34, v111, v107, v34
	;;#ASMEND
	s_waitcnt lgkmcnt(0)
	;;#ASMSTART
	v_dot2_f32_f16 v36, v108, v124, v36
	;;#ASMEND
	;;#ASMSTART
	v_dot2_f32_f16 v36, v109, v125, v36
	;;#ASMEND
	;; [unrolled: 3-line block ×28, first 2 shown]
	ds_read_b128 v[104:107], v71 offset:352
	ds_read_b128 v[108:111], v70 offset:96
	;; [unrolled: 1-line block ×6, first 2 shown]
	s_waitcnt lgkmcnt(4)
	;;#ASMSTART
	v_dot2_f32_f16 v34, v108, v104, v34
	;;#ASMEND
	;;#ASMSTART
	v_dot2_f32_f16 v34, v109, v105, v34
	;;#ASMEND
	;;#ASMSTART
	v_dot2_f32_f16 v34, v110, v106, v34
	;;#ASMEND
	;;#ASMSTART
	v_dot2_f32_f16 v34, v111, v107, v34
	;;#ASMEND
	s_waitcnt lgkmcnt(0)
	;;#ASMSTART
	v_dot2_f32_f16 v36, v108, v124, v36
	;;#ASMEND
	;;#ASMSTART
	v_dot2_f32_f16 v36, v109, v125, v36
	;;#ASMEND
	;; [unrolled: 3-line block ×28, first 2 shown]
	ds_read_b128 v[104:107], v71 offset:368
	ds_read_b128 v[108:111], v70 offset:112
	;; [unrolled: 1-line block ×6, first 2 shown]
	s_waitcnt lgkmcnt(4)
	;;#ASMSTART
	v_dot2_f32_f16 v34, v108, v104, v34
	;;#ASMEND
	;;#ASMSTART
	v_dot2_f32_f16 v34, v109, v105, v34
	;;#ASMEND
	;; [unrolled: 3-line block ×4, first 2 shown]
	s_waitcnt lgkmcnt(0)
	;;#ASMSTART
	v_dot2_f32_f16 v36, v108, v124, v36
	;;#ASMEND
	;;#ASMSTART
	v_dot2_f32_f16 v36, v109, v125, v36
	;;#ASMEND
	;;#ASMSTART
	v_dot2_f32_f16 v36, v110, v126, v36
	;;#ASMEND
	;;#ASMSTART
	v_dot2_f32_f16 v36, v111, v127, v36
	;;#ASMEND
	;;#ASMSTART
	v_dot2_f32_f16 v35, v112, v104, v35
	;;#ASMEND
	;;#ASMSTART
	v_dot2_f32_f16 v35, v113, v105, v35
	;;#ASMEND
	;;#ASMSTART
	v_dot2_f32_f16 v35, v114, v106, v35
	;;#ASMEND
	;;#ASMSTART
	v_dot2_f32_f16 v35, v115, v107, v35
	;;#ASMEND
	;;#ASMSTART
	v_dot2_f32_f16 v37, v112, v124, v37
	;;#ASMEND
	;;#ASMSTART
	v_dot2_f32_f16 v37, v113, v125, v37
	;;#ASMEND
	;;#ASMSTART
	v_dot2_f32_f16 v37, v114, v126, v37
	;;#ASMEND
	;;#ASMSTART
	v_dot2_f32_f16 v37, v115, v127, v37
	;;#ASMEND
	;;#ASMSTART
	v_dot2_f32_f16 v38, v116, v104, v38
	;;#ASMEND
	;;#ASMSTART
	v_dot2_f32_f16 v38, v117, v105, v38
	;;#ASMEND
	;;#ASMSTART
	v_dot2_f32_f16 v38, v118, v106, v38
	;;#ASMEND
	;;#ASMSTART
	v_dot2_f32_f16 v38, v119, v107, v38
	;;#ASMEND
	;;#ASMSTART
	v_dot2_f32_f16 v39, v116, v124, v39
	;;#ASMEND
	;;#ASMSTART
	v_dot2_f32_f16 v39, v117, v125, v39
	;;#ASMEND
	;;#ASMSTART
	v_dot2_f32_f16 v39, v118, v126, v39
	;;#ASMEND
	;;#ASMSTART
	v_dot2_f32_f16 v39, v119, v127, v39
	;;#ASMEND
	;;#ASMSTART
	v_dot2_f32_f16 v40, v120, v104, v40
	;;#ASMEND
	;;#ASMSTART
	v_dot2_f32_f16 v40, v121, v105, v40
	;;#ASMEND
	;;#ASMSTART
	v_dot2_f32_f16 v40, v122, v106, v40
	;;#ASMEND
	;;#ASMSTART
	v_dot2_f32_f16 v40, v123, v107, v40
	;;#ASMEND
	;;#ASMSTART
	v_dot2_f32_f16 v41, v120, v124, v41
	;;#ASMEND
	;;#ASMSTART
	v_dot2_f32_f16 v41, v121, v125, v41
	;;#ASMEND
	;;#ASMSTART
	v_dot2_f32_f16 v41, v122, v126, v41
	;;#ASMEND
	;;#ASMSTART
	v_dot2_f32_f16 v41, v123, v127, v41
	;;#ASMEND
	s_barrier
	global_load_dwordx4 v[104:107], v[4:5], off offset:384
	global_load_dwordx4 v[108:111], v[2:3], off offset:384
	s_waitcnt vmcnt(1)
	ds_write_b128 v68, v[104:107]
	s_waitcnt vmcnt(0)
	ds_write_b128 v69, v[108:111]
	s_waitcnt lgkmcnt(0)
	s_barrier
	ds_read_b128 v[104:107], v71 offset:384
	ds_read_b128 v[108:111], v70
	ds_read_b128 v[112:115], v70 offset:4608
	ds_read_b128 v[116:119], v70 offset:9216
	;; [unrolled: 1-line block ×4, first 2 shown]
	s_waitcnt lgkmcnt(4)
	;;#ASMSTART
	v_dot2_f32_f16 v34, v108, v104, v34
	;;#ASMEND
	;;#ASMSTART
	v_dot2_f32_f16 v34, v109, v105, v34
	;;#ASMEND
	;; [unrolled: 3-line block ×4, first 2 shown]
	s_waitcnt lgkmcnt(0)
	;;#ASMSTART
	v_dot2_f32_f16 v36, v108, v124, v36
	;;#ASMEND
	;;#ASMSTART
	v_dot2_f32_f16 v36, v109, v125, v36
	;;#ASMEND
	;; [unrolled: 3-line block ×28, first 2 shown]
	ds_read_b128 v[104:107], v71 offset:400
	ds_read_b128 v[108:111], v70 offset:16
	;; [unrolled: 1-line block ×6, first 2 shown]
	s_waitcnt lgkmcnt(4)
	;;#ASMSTART
	v_dot2_f32_f16 v34, v108, v104, v34
	;;#ASMEND
	;;#ASMSTART
	v_dot2_f32_f16 v34, v109, v105, v34
	;;#ASMEND
	;; [unrolled: 3-line block ×4, first 2 shown]
	s_waitcnt lgkmcnt(0)
	;;#ASMSTART
	v_dot2_f32_f16 v36, v108, v124, v36
	;;#ASMEND
	;;#ASMSTART
	v_dot2_f32_f16 v36, v109, v125, v36
	;;#ASMEND
	;; [unrolled: 3-line block ×28, first 2 shown]
	ds_read_b128 v[104:107], v71 offset:416
	ds_read_b128 v[108:111], v70 offset:32
	;; [unrolled: 1-line block ×6, first 2 shown]
	s_waitcnt lgkmcnt(4)
	;;#ASMSTART
	v_dot2_f32_f16 v34, v108, v104, v34
	;;#ASMEND
	;;#ASMSTART
	v_dot2_f32_f16 v34, v109, v105, v34
	;;#ASMEND
	;; [unrolled: 3-line block ×4, first 2 shown]
	s_waitcnt lgkmcnt(0)
	;;#ASMSTART
	v_dot2_f32_f16 v36, v108, v124, v36
	;;#ASMEND
	;;#ASMSTART
	v_dot2_f32_f16 v36, v109, v125, v36
	;;#ASMEND
	;; [unrolled: 3-line block ×28, first 2 shown]
	ds_read_b128 v[104:107], v71 offset:432
	ds_read_b128 v[108:111], v70 offset:48
	;; [unrolled: 1-line block ×6, first 2 shown]
	s_waitcnt lgkmcnt(4)
	;;#ASMSTART
	v_dot2_f32_f16 v34, v108, v104, v34
	;;#ASMEND
	;;#ASMSTART
	v_dot2_f32_f16 v34, v109, v105, v34
	;;#ASMEND
	;; [unrolled: 3-line block ×4, first 2 shown]
	s_waitcnt lgkmcnt(0)
	;;#ASMSTART
	v_dot2_f32_f16 v36, v108, v124, v36
	;;#ASMEND
	;;#ASMSTART
	v_dot2_f32_f16 v36, v109, v125, v36
	;;#ASMEND
	;; [unrolled: 3-line block ×28, first 2 shown]
	ds_read_b128 v[104:107], v71 offset:448
	ds_read_b128 v[108:111], v70 offset:64
	;; [unrolled: 1-line block ×6, first 2 shown]
	s_waitcnt lgkmcnt(4)
	;;#ASMSTART
	v_dot2_f32_f16 v34, v108, v104, v34
	;;#ASMEND
	;;#ASMSTART
	v_dot2_f32_f16 v34, v109, v105, v34
	;;#ASMEND
	;; [unrolled: 3-line block ×4, first 2 shown]
	s_waitcnt lgkmcnt(0)
	;;#ASMSTART
	v_dot2_f32_f16 v36, v108, v124, v36
	;;#ASMEND
	;;#ASMSTART
	v_dot2_f32_f16 v36, v109, v125, v36
	;;#ASMEND
	;; [unrolled: 3-line block ×28, first 2 shown]
	ds_read_b128 v[104:107], v71 offset:464
	ds_read_b128 v[108:111], v70 offset:80
	;; [unrolled: 1-line block ×6, first 2 shown]
	s_waitcnt lgkmcnt(4)
	;;#ASMSTART
	v_dot2_f32_f16 v34, v108, v104, v34
	;;#ASMEND
	;;#ASMSTART
	v_dot2_f32_f16 v34, v109, v105, v34
	;;#ASMEND
	;; [unrolled: 3-line block ×4, first 2 shown]
	s_waitcnt lgkmcnt(0)
	;;#ASMSTART
	v_dot2_f32_f16 v36, v108, v124, v36
	;;#ASMEND
	;;#ASMSTART
	v_dot2_f32_f16 v36, v109, v125, v36
	;;#ASMEND
	;;#ASMSTART
	v_dot2_f32_f16 v36, v110, v126, v36
	;;#ASMEND
	;;#ASMSTART
	v_dot2_f32_f16 v36, v111, v127, v36
	;;#ASMEND
	;;#ASMSTART
	v_dot2_f32_f16 v35, v112, v104, v35
	;;#ASMEND
	;;#ASMSTART
	v_dot2_f32_f16 v35, v113, v105, v35
	;;#ASMEND
	;;#ASMSTART
	v_dot2_f32_f16 v35, v114, v106, v35
	;;#ASMEND
	;;#ASMSTART
	v_dot2_f32_f16 v35, v115, v107, v35
	;;#ASMEND
	;;#ASMSTART
	v_dot2_f32_f16 v37, v112, v124, v37
	;;#ASMEND
	;;#ASMSTART
	v_dot2_f32_f16 v37, v113, v125, v37
	;;#ASMEND
	;;#ASMSTART
	v_dot2_f32_f16 v37, v114, v126, v37
	;;#ASMEND
	;;#ASMSTART
	v_dot2_f32_f16 v37, v115, v127, v37
	;;#ASMEND
	;;#ASMSTART
	v_dot2_f32_f16 v38, v116, v104, v38
	;;#ASMEND
	;;#ASMSTART
	v_dot2_f32_f16 v38, v117, v105, v38
	;;#ASMEND
	;;#ASMSTART
	v_dot2_f32_f16 v38, v118, v106, v38
	;;#ASMEND
	;;#ASMSTART
	v_dot2_f32_f16 v38, v119, v107, v38
	;;#ASMEND
	;;#ASMSTART
	v_dot2_f32_f16 v39, v116, v124, v39
	;;#ASMEND
	;;#ASMSTART
	v_dot2_f32_f16 v39, v117, v125, v39
	;;#ASMEND
	;;#ASMSTART
	v_dot2_f32_f16 v39, v118, v126, v39
	;;#ASMEND
	;;#ASMSTART
	v_dot2_f32_f16 v39, v119, v127, v39
	;;#ASMEND
	;;#ASMSTART
	v_dot2_f32_f16 v40, v120, v104, v40
	;;#ASMEND
	;;#ASMSTART
	v_dot2_f32_f16 v40, v121, v105, v40
	;;#ASMEND
	;;#ASMSTART
	v_dot2_f32_f16 v40, v122, v106, v40
	;;#ASMEND
	;;#ASMSTART
	v_dot2_f32_f16 v40, v123, v107, v40
	;;#ASMEND
	;;#ASMSTART
	v_dot2_f32_f16 v41, v120, v124, v41
	;;#ASMEND
	;;#ASMSTART
	v_dot2_f32_f16 v41, v121, v125, v41
	;;#ASMEND
	;;#ASMSTART
	v_dot2_f32_f16 v41, v122, v126, v41
	;;#ASMEND
	;;#ASMSTART
	v_dot2_f32_f16 v41, v123, v127, v41
	;;#ASMEND
	ds_read_b128 v[104:107], v71 offset:480
	ds_read_b128 v[108:111], v70 offset:96
	;; [unrolled: 1-line block ×6, first 2 shown]
	s_waitcnt lgkmcnt(4)
	;;#ASMSTART
	v_dot2_f32_f16 v34, v108, v104, v34
	;;#ASMEND
	;;#ASMSTART
	v_dot2_f32_f16 v34, v109, v105, v34
	;;#ASMEND
	;;#ASMSTART
	v_dot2_f32_f16 v34, v110, v106, v34
	;;#ASMEND
	;;#ASMSTART
	v_dot2_f32_f16 v34, v111, v107, v34
	;;#ASMEND
	s_waitcnt lgkmcnt(0)
	;;#ASMSTART
	v_dot2_f32_f16 v36, v108, v124, v36
	;;#ASMEND
	;;#ASMSTART
	v_dot2_f32_f16 v36, v109, v125, v36
	;;#ASMEND
	;; [unrolled: 3-line block ×28, first 2 shown]
	ds_read_b128 v[104:107], v71 offset:496
	ds_read_b128 v[108:111], v70 offset:112
	;; [unrolled: 1-line block ×6, first 2 shown]
	s_waitcnt lgkmcnt(4)
	;;#ASMSTART
	v_dot2_f32_f16 v34, v108, v104, v34
	;;#ASMEND
	;;#ASMSTART
	v_dot2_f32_f16 v34, v109, v105, v34
	;;#ASMEND
	;;#ASMSTART
	v_dot2_f32_f16 v34, v110, v106, v34
	;;#ASMEND
	;;#ASMSTART
	v_dot2_f32_f16 v34, v111, v107, v34
	;;#ASMEND
	s_waitcnt lgkmcnt(0)
	;;#ASMSTART
	v_dot2_f32_f16 v36, v108, v124, v36
	;;#ASMEND
	;;#ASMSTART
	v_dot2_f32_f16 v36, v109, v125, v36
	;;#ASMEND
	;; [unrolled: 3-line block ×28, first 2 shown]
	s_barrier
	global_load_dwordx4 v[104:107], v[4:5], off offset:512
	global_load_dwordx4 v[108:111], v[2:3], off offset:512
	s_waitcnt vmcnt(1)
	ds_write_b128 v68, v[104:107]
	s_waitcnt vmcnt(0)
	ds_write_b128 v69, v[108:111]
	s_waitcnt lgkmcnt(0)
	s_barrier
	ds_read_b128 v[104:107], v71 offset:512
	ds_read_b128 v[108:111], v70
	ds_read_b128 v[112:115], v70 offset:4608
	ds_read_b128 v[116:119], v70 offset:9216
	;; [unrolled: 1-line block ×4, first 2 shown]
	s_waitcnt lgkmcnt(4)
	;;#ASMSTART
	v_dot2_f32_f16 v34, v108, v104, v34
	;;#ASMEND
	;;#ASMSTART
	v_dot2_f32_f16 v34, v109, v105, v34
	;;#ASMEND
	;;#ASMSTART
	v_dot2_f32_f16 v34, v110, v106, v34
	;;#ASMEND
	;;#ASMSTART
	v_dot2_f32_f16 v34, v111, v107, v34
	;;#ASMEND
	s_waitcnt lgkmcnt(0)
	;;#ASMSTART
	v_dot2_f32_f16 v36, v108, v124, v36
	;;#ASMEND
	;;#ASMSTART
	v_dot2_f32_f16 v36, v109, v125, v36
	;;#ASMEND
	;; [unrolled: 3-line block ×28, first 2 shown]
	ds_read_b128 v[104:107], v71 offset:528
	ds_read_b128 v[108:111], v70 offset:16
	;; [unrolled: 1-line block ×6, first 2 shown]
	s_waitcnt lgkmcnt(4)
	;;#ASMSTART
	v_dot2_f32_f16 v34, v108, v104, v34
	;;#ASMEND
	;;#ASMSTART
	v_dot2_f32_f16 v34, v109, v105, v34
	;;#ASMEND
	;; [unrolled: 3-line block ×4, first 2 shown]
	s_waitcnt lgkmcnt(0)
	;;#ASMSTART
	v_dot2_f32_f16 v36, v108, v124, v36
	;;#ASMEND
	;;#ASMSTART
	v_dot2_f32_f16 v36, v109, v125, v36
	;;#ASMEND
	;; [unrolled: 3-line block ×28, first 2 shown]
	ds_read_b128 v[104:107], v71 offset:544
	ds_read_b128 v[108:111], v70 offset:32
	ds_read_b128 v[112:115], v73 offset:4608
	ds_read_b128 v[116:119], v73 offset:9216
	ds_read_b128 v[120:123], v73 offset:13824
	ds_read_b128 v[124:127], v71 offset:1568
	s_waitcnt lgkmcnt(4)
	;;#ASMSTART
	v_dot2_f32_f16 v34, v108, v104, v34
	;;#ASMEND
	;;#ASMSTART
	v_dot2_f32_f16 v34, v109, v105, v34
	;;#ASMEND
	;; [unrolled: 3-line block ×4, first 2 shown]
	s_waitcnt lgkmcnt(0)
	;;#ASMSTART
	v_dot2_f32_f16 v36, v108, v124, v36
	;;#ASMEND
	;;#ASMSTART
	v_dot2_f32_f16 v36, v109, v125, v36
	;;#ASMEND
	;; [unrolled: 3-line block ×28, first 2 shown]
	ds_read_b128 v[104:107], v71 offset:560
	ds_read_b128 v[108:111], v70 offset:48
	;; [unrolled: 1-line block ×6, first 2 shown]
	s_waitcnt lgkmcnt(4)
	;;#ASMSTART
	v_dot2_f32_f16 v34, v108, v104, v34
	;;#ASMEND
	;;#ASMSTART
	v_dot2_f32_f16 v34, v109, v105, v34
	;;#ASMEND
	;;#ASMSTART
	v_dot2_f32_f16 v34, v110, v106, v34
	;;#ASMEND
	;;#ASMSTART
	v_dot2_f32_f16 v34, v111, v107, v34
	;;#ASMEND
	s_waitcnt lgkmcnt(0)
	;;#ASMSTART
	v_dot2_f32_f16 v36, v108, v124, v36
	;;#ASMEND
	;;#ASMSTART
	v_dot2_f32_f16 v36, v109, v125, v36
	;;#ASMEND
	;; [unrolled: 3-line block ×28, first 2 shown]
	ds_read_b128 v[104:107], v71 offset:576
	ds_read_b128 v[108:111], v70 offset:64
	;; [unrolled: 1-line block ×6, first 2 shown]
	s_waitcnt lgkmcnt(4)
	;;#ASMSTART
	v_dot2_f32_f16 v34, v108, v104, v34
	;;#ASMEND
	;;#ASMSTART
	v_dot2_f32_f16 v34, v109, v105, v34
	;;#ASMEND
	;; [unrolled: 3-line block ×4, first 2 shown]
	s_waitcnt lgkmcnt(0)
	;;#ASMSTART
	v_dot2_f32_f16 v36, v108, v124, v36
	;;#ASMEND
	;;#ASMSTART
	v_dot2_f32_f16 v36, v109, v125, v36
	;;#ASMEND
	;; [unrolled: 3-line block ×28, first 2 shown]
	ds_read_b128 v[104:107], v71 offset:592
	ds_read_b128 v[108:111], v70 offset:80
	;; [unrolled: 1-line block ×6, first 2 shown]
	s_waitcnt lgkmcnt(4)
	;;#ASMSTART
	v_dot2_f32_f16 v34, v108, v104, v34
	;;#ASMEND
	;;#ASMSTART
	v_dot2_f32_f16 v34, v109, v105, v34
	;;#ASMEND
	;;#ASMSTART
	v_dot2_f32_f16 v34, v110, v106, v34
	;;#ASMEND
	;;#ASMSTART
	v_dot2_f32_f16 v34, v111, v107, v34
	;;#ASMEND
	s_waitcnt lgkmcnt(0)
	;;#ASMSTART
	v_dot2_f32_f16 v36, v108, v124, v36
	;;#ASMEND
	;;#ASMSTART
	v_dot2_f32_f16 v36, v109, v125, v36
	;;#ASMEND
	;; [unrolled: 3-line block ×28, first 2 shown]
	ds_read_b128 v[104:107], v71 offset:608
	ds_read_b128 v[108:111], v70 offset:96
	;; [unrolled: 1-line block ×6, first 2 shown]
	s_waitcnt lgkmcnt(4)
	;;#ASMSTART
	v_dot2_f32_f16 v34, v108, v104, v34
	;;#ASMEND
	;;#ASMSTART
	v_dot2_f32_f16 v34, v109, v105, v34
	;;#ASMEND
	;; [unrolled: 3-line block ×4, first 2 shown]
	s_waitcnt lgkmcnt(0)
	;;#ASMSTART
	v_dot2_f32_f16 v36, v108, v124, v36
	;;#ASMEND
	;;#ASMSTART
	v_dot2_f32_f16 v36, v109, v125, v36
	;;#ASMEND
	;; [unrolled: 3-line block ×28, first 2 shown]
	ds_read_b128 v[104:107], v71 offset:624
	ds_read_b128 v[108:111], v70 offset:112
	;; [unrolled: 1-line block ×6, first 2 shown]
	s_waitcnt lgkmcnt(4)
	;;#ASMSTART
	v_dot2_f32_f16 v34, v108, v104, v34
	;;#ASMEND
	;;#ASMSTART
	v_dot2_f32_f16 v34, v109, v105, v34
	;;#ASMEND
	;; [unrolled: 3-line block ×4, first 2 shown]
	s_waitcnt lgkmcnt(0)
	;;#ASMSTART
	v_dot2_f32_f16 v36, v108, v124, v36
	;;#ASMEND
	;;#ASMSTART
	v_dot2_f32_f16 v36, v109, v125, v36
	;;#ASMEND
	;; [unrolled: 3-line block ×28, first 2 shown]
	s_barrier
	global_load_dwordx4 v[104:107], v[4:5], off offset:640
	global_load_dwordx4 v[108:111], v[2:3], off offset:640
	s_waitcnt vmcnt(1)
	ds_write_b128 v68, v[104:107]
	s_waitcnt vmcnt(0)
	ds_write_b128 v69, v[108:111]
	s_waitcnt lgkmcnt(0)
	s_barrier
	ds_read_b128 v[104:107], v71 offset:640
	ds_read_b128 v[108:111], v70
	ds_read_b128 v[112:115], v70 offset:4608
	ds_read_b128 v[116:119], v70 offset:9216
	;; [unrolled: 1-line block ×4, first 2 shown]
	s_waitcnt lgkmcnt(4)
	;;#ASMSTART
	v_dot2_f32_f16 v34, v108, v104, v34
	;;#ASMEND
	;;#ASMSTART
	v_dot2_f32_f16 v34, v109, v105, v34
	;;#ASMEND
	;; [unrolled: 3-line block ×4, first 2 shown]
	s_waitcnt lgkmcnt(0)
	;;#ASMSTART
	v_dot2_f32_f16 v36, v108, v124, v36
	;;#ASMEND
	;;#ASMSTART
	v_dot2_f32_f16 v36, v109, v125, v36
	;;#ASMEND
	;; [unrolled: 3-line block ×28, first 2 shown]
	ds_read_b128 v[104:107], v71 offset:656
	ds_read_b128 v[108:111], v70 offset:16
	;; [unrolled: 1-line block ×6, first 2 shown]
	s_waitcnt lgkmcnt(4)
	;;#ASMSTART
	v_dot2_f32_f16 v34, v108, v104, v34
	;;#ASMEND
	;;#ASMSTART
	v_dot2_f32_f16 v34, v109, v105, v34
	;;#ASMEND
	;; [unrolled: 3-line block ×4, first 2 shown]
	s_waitcnt lgkmcnt(0)
	;;#ASMSTART
	v_dot2_f32_f16 v36, v108, v124, v36
	;;#ASMEND
	;;#ASMSTART
	v_dot2_f32_f16 v36, v109, v125, v36
	;;#ASMEND
	;;#ASMSTART
	v_dot2_f32_f16 v36, v110, v126, v36
	;;#ASMEND
	;;#ASMSTART
	v_dot2_f32_f16 v36, v111, v127, v36
	;;#ASMEND
	;;#ASMSTART
	v_dot2_f32_f16 v35, v112, v104, v35
	;;#ASMEND
	;;#ASMSTART
	v_dot2_f32_f16 v35, v113, v105, v35
	;;#ASMEND
	;;#ASMSTART
	v_dot2_f32_f16 v35, v114, v106, v35
	;;#ASMEND
	;;#ASMSTART
	v_dot2_f32_f16 v35, v115, v107, v35
	;;#ASMEND
	;;#ASMSTART
	v_dot2_f32_f16 v37, v112, v124, v37
	;;#ASMEND
	;;#ASMSTART
	v_dot2_f32_f16 v37, v113, v125, v37
	;;#ASMEND
	;;#ASMSTART
	v_dot2_f32_f16 v37, v114, v126, v37
	;;#ASMEND
	;;#ASMSTART
	v_dot2_f32_f16 v37, v115, v127, v37
	;;#ASMEND
	;;#ASMSTART
	v_dot2_f32_f16 v38, v116, v104, v38
	;;#ASMEND
	;;#ASMSTART
	v_dot2_f32_f16 v38, v117, v105, v38
	;;#ASMEND
	;;#ASMSTART
	v_dot2_f32_f16 v38, v118, v106, v38
	;;#ASMEND
	;;#ASMSTART
	v_dot2_f32_f16 v38, v119, v107, v38
	;;#ASMEND
	;;#ASMSTART
	v_dot2_f32_f16 v39, v116, v124, v39
	;;#ASMEND
	;;#ASMSTART
	v_dot2_f32_f16 v39, v117, v125, v39
	;;#ASMEND
	;;#ASMSTART
	v_dot2_f32_f16 v39, v118, v126, v39
	;;#ASMEND
	;;#ASMSTART
	v_dot2_f32_f16 v39, v119, v127, v39
	;;#ASMEND
	;;#ASMSTART
	v_dot2_f32_f16 v40, v120, v104, v40
	;;#ASMEND
	;;#ASMSTART
	v_dot2_f32_f16 v40, v121, v105, v40
	;;#ASMEND
	;;#ASMSTART
	v_dot2_f32_f16 v40, v122, v106, v40
	;;#ASMEND
	;;#ASMSTART
	v_dot2_f32_f16 v40, v123, v107, v40
	;;#ASMEND
	;;#ASMSTART
	v_dot2_f32_f16 v41, v120, v124, v41
	;;#ASMEND
	;;#ASMSTART
	v_dot2_f32_f16 v41, v121, v125, v41
	;;#ASMEND
	;;#ASMSTART
	v_dot2_f32_f16 v41, v122, v126, v41
	;;#ASMEND
	;;#ASMSTART
	v_dot2_f32_f16 v41, v123, v127, v41
	;;#ASMEND
	ds_read_b128 v[104:107], v71 offset:672
	ds_read_b128 v[108:111], v70 offset:32
	;; [unrolled: 1-line block ×6, first 2 shown]
	s_waitcnt lgkmcnt(4)
	;;#ASMSTART
	v_dot2_f32_f16 v34, v108, v104, v34
	;;#ASMEND
	;;#ASMSTART
	v_dot2_f32_f16 v34, v109, v105, v34
	;;#ASMEND
	;; [unrolled: 3-line block ×4, first 2 shown]
	s_waitcnt lgkmcnt(0)
	;;#ASMSTART
	v_dot2_f32_f16 v36, v108, v124, v36
	;;#ASMEND
	;;#ASMSTART
	v_dot2_f32_f16 v36, v109, v125, v36
	;;#ASMEND
	;; [unrolled: 3-line block ×28, first 2 shown]
	ds_read_b128 v[104:107], v71 offset:688
	ds_read_b128 v[108:111], v70 offset:48
	;; [unrolled: 1-line block ×6, first 2 shown]
	s_waitcnt lgkmcnt(4)
	;;#ASMSTART
	v_dot2_f32_f16 v34, v108, v104, v34
	;;#ASMEND
	;;#ASMSTART
	v_dot2_f32_f16 v34, v109, v105, v34
	;;#ASMEND
	;; [unrolled: 3-line block ×4, first 2 shown]
	s_waitcnt lgkmcnt(0)
	;;#ASMSTART
	v_dot2_f32_f16 v36, v108, v124, v36
	;;#ASMEND
	;;#ASMSTART
	v_dot2_f32_f16 v36, v109, v125, v36
	;;#ASMEND
	;; [unrolled: 3-line block ×28, first 2 shown]
	ds_read_b128 v[104:107], v71 offset:704
	ds_read_b128 v[108:111], v70 offset:64
	;; [unrolled: 1-line block ×6, first 2 shown]
	s_waitcnt lgkmcnt(4)
	;;#ASMSTART
	v_dot2_f32_f16 v34, v108, v104, v34
	;;#ASMEND
	;;#ASMSTART
	v_dot2_f32_f16 v34, v109, v105, v34
	;;#ASMEND
	;; [unrolled: 3-line block ×4, first 2 shown]
	s_waitcnt lgkmcnt(0)
	;;#ASMSTART
	v_dot2_f32_f16 v36, v108, v124, v36
	;;#ASMEND
	;;#ASMSTART
	v_dot2_f32_f16 v36, v109, v125, v36
	;;#ASMEND
	;;#ASMSTART
	v_dot2_f32_f16 v36, v110, v126, v36
	;;#ASMEND
	;;#ASMSTART
	v_dot2_f32_f16 v36, v111, v127, v36
	;;#ASMEND
	;;#ASMSTART
	v_dot2_f32_f16 v35, v112, v104, v35
	;;#ASMEND
	;;#ASMSTART
	v_dot2_f32_f16 v35, v113, v105, v35
	;;#ASMEND
	;;#ASMSTART
	v_dot2_f32_f16 v35, v114, v106, v35
	;;#ASMEND
	;;#ASMSTART
	v_dot2_f32_f16 v35, v115, v107, v35
	;;#ASMEND
	;;#ASMSTART
	v_dot2_f32_f16 v37, v112, v124, v37
	;;#ASMEND
	;;#ASMSTART
	v_dot2_f32_f16 v37, v113, v125, v37
	;;#ASMEND
	;;#ASMSTART
	v_dot2_f32_f16 v37, v114, v126, v37
	;;#ASMEND
	;;#ASMSTART
	v_dot2_f32_f16 v37, v115, v127, v37
	;;#ASMEND
	;;#ASMSTART
	v_dot2_f32_f16 v38, v116, v104, v38
	;;#ASMEND
	;;#ASMSTART
	v_dot2_f32_f16 v38, v117, v105, v38
	;;#ASMEND
	;;#ASMSTART
	v_dot2_f32_f16 v38, v118, v106, v38
	;;#ASMEND
	;;#ASMSTART
	v_dot2_f32_f16 v38, v119, v107, v38
	;;#ASMEND
	;;#ASMSTART
	v_dot2_f32_f16 v39, v116, v124, v39
	;;#ASMEND
	;;#ASMSTART
	v_dot2_f32_f16 v39, v117, v125, v39
	;;#ASMEND
	;;#ASMSTART
	v_dot2_f32_f16 v39, v118, v126, v39
	;;#ASMEND
	;;#ASMSTART
	v_dot2_f32_f16 v39, v119, v127, v39
	;;#ASMEND
	;;#ASMSTART
	v_dot2_f32_f16 v40, v120, v104, v40
	;;#ASMEND
	;;#ASMSTART
	v_dot2_f32_f16 v40, v121, v105, v40
	;;#ASMEND
	;;#ASMSTART
	v_dot2_f32_f16 v40, v122, v106, v40
	;;#ASMEND
	;;#ASMSTART
	v_dot2_f32_f16 v40, v123, v107, v40
	;;#ASMEND
	;;#ASMSTART
	v_dot2_f32_f16 v41, v120, v124, v41
	;;#ASMEND
	;;#ASMSTART
	v_dot2_f32_f16 v41, v121, v125, v41
	;;#ASMEND
	;;#ASMSTART
	v_dot2_f32_f16 v41, v122, v126, v41
	;;#ASMEND
	;;#ASMSTART
	v_dot2_f32_f16 v41, v123, v127, v41
	;;#ASMEND
	ds_read_b128 v[104:107], v71 offset:720
	ds_read_b128 v[108:111], v70 offset:80
	;; [unrolled: 1-line block ×6, first 2 shown]
	s_waitcnt lgkmcnt(4)
	;;#ASMSTART
	v_dot2_f32_f16 v34, v108, v104, v34
	;;#ASMEND
	;;#ASMSTART
	v_dot2_f32_f16 v34, v109, v105, v34
	;;#ASMEND
	;;#ASMSTART
	v_dot2_f32_f16 v34, v110, v106, v34
	;;#ASMEND
	;;#ASMSTART
	v_dot2_f32_f16 v34, v111, v107, v34
	;;#ASMEND
	s_waitcnt lgkmcnt(0)
	;;#ASMSTART
	v_dot2_f32_f16 v36, v108, v124, v36
	;;#ASMEND
	;;#ASMSTART
	v_dot2_f32_f16 v36, v109, v125, v36
	;;#ASMEND
	;; [unrolled: 3-line block ×28, first 2 shown]
	ds_read_b128 v[104:107], v71 offset:736
	ds_read_b128 v[108:111], v70 offset:96
	;; [unrolled: 1-line block ×6, first 2 shown]
	s_waitcnt lgkmcnt(4)
	;;#ASMSTART
	v_dot2_f32_f16 v34, v108, v104, v34
	;;#ASMEND
	;;#ASMSTART
	v_dot2_f32_f16 v34, v109, v105, v34
	;;#ASMEND
	;; [unrolled: 3-line block ×4, first 2 shown]
	s_waitcnt lgkmcnt(0)
	;;#ASMSTART
	v_dot2_f32_f16 v36, v108, v124, v36
	;;#ASMEND
	;;#ASMSTART
	v_dot2_f32_f16 v36, v109, v125, v36
	;;#ASMEND
	;; [unrolled: 3-line block ×28, first 2 shown]
	ds_read_b128 v[104:107], v71 offset:752
	ds_read_b128 v[108:111], v70 offset:112
	;; [unrolled: 1-line block ×6, first 2 shown]
	s_waitcnt lgkmcnt(4)
	;;#ASMSTART
	v_dot2_f32_f16 v34, v108, v104, v34
	;;#ASMEND
	;;#ASMSTART
	v_dot2_f32_f16 v34, v109, v105, v34
	;;#ASMEND
	;; [unrolled: 3-line block ×4, first 2 shown]
	s_waitcnt lgkmcnt(0)
	;;#ASMSTART
	v_dot2_f32_f16 v36, v108, v124, v36
	;;#ASMEND
	;;#ASMSTART
	v_dot2_f32_f16 v36, v109, v125, v36
	;;#ASMEND
	;; [unrolled: 3-line block ×28, first 2 shown]
	s_barrier
	global_load_dwordx4 v[104:107], v[4:5], off offset:768
	global_load_dwordx4 v[108:111], v[2:3], off offset:768
	s_waitcnt vmcnt(1)
	ds_write_b128 v68, v[104:107]
	s_waitcnt vmcnt(0)
	ds_write_b128 v69, v[108:111]
	s_waitcnt lgkmcnt(0)
	s_barrier
	ds_read_b128 v[104:107], v71 offset:768
	ds_read_b128 v[108:111], v70
	ds_read_b128 v[112:115], v70 offset:4608
	ds_read_b128 v[116:119], v70 offset:9216
	;; [unrolled: 1-line block ×4, first 2 shown]
	s_waitcnt lgkmcnt(4)
	;;#ASMSTART
	v_dot2_f32_f16 v34, v108, v104, v34
	;;#ASMEND
	;;#ASMSTART
	v_dot2_f32_f16 v34, v109, v105, v34
	;;#ASMEND
	;; [unrolled: 3-line block ×4, first 2 shown]
	s_waitcnt lgkmcnt(0)
	;;#ASMSTART
	v_dot2_f32_f16 v36, v108, v124, v36
	;;#ASMEND
	;;#ASMSTART
	v_dot2_f32_f16 v36, v109, v125, v36
	;;#ASMEND
	;; [unrolled: 3-line block ×28, first 2 shown]
	ds_read_b128 v[104:107], v71 offset:784
	ds_read_b128 v[108:111], v70 offset:16
	;; [unrolled: 1-line block ×6, first 2 shown]
	s_waitcnt lgkmcnt(4)
	;;#ASMSTART
	v_dot2_f32_f16 v34, v108, v104, v34
	;;#ASMEND
	;;#ASMSTART
	v_dot2_f32_f16 v34, v109, v105, v34
	;;#ASMEND
	;; [unrolled: 3-line block ×4, first 2 shown]
	s_waitcnt lgkmcnt(0)
	;;#ASMSTART
	v_dot2_f32_f16 v36, v108, v124, v36
	;;#ASMEND
	;;#ASMSTART
	v_dot2_f32_f16 v36, v109, v125, v36
	;;#ASMEND
	;; [unrolled: 3-line block ×28, first 2 shown]
	ds_read_b128 v[104:107], v71 offset:800
	ds_read_b128 v[108:111], v70 offset:32
	;; [unrolled: 1-line block ×6, first 2 shown]
	s_waitcnt lgkmcnt(4)
	;;#ASMSTART
	v_dot2_f32_f16 v34, v108, v104, v34
	;;#ASMEND
	;;#ASMSTART
	v_dot2_f32_f16 v34, v109, v105, v34
	;;#ASMEND
	;; [unrolled: 3-line block ×4, first 2 shown]
	s_waitcnt lgkmcnt(0)
	;;#ASMSTART
	v_dot2_f32_f16 v36, v108, v124, v36
	;;#ASMEND
	;;#ASMSTART
	v_dot2_f32_f16 v36, v109, v125, v36
	;;#ASMEND
	;; [unrolled: 3-line block ×28, first 2 shown]
	ds_read_b128 v[104:107], v71 offset:816
	ds_read_b128 v[108:111], v70 offset:48
	;; [unrolled: 1-line block ×6, first 2 shown]
	s_waitcnt lgkmcnt(4)
	;;#ASMSTART
	v_dot2_f32_f16 v34, v108, v104, v34
	;;#ASMEND
	;;#ASMSTART
	v_dot2_f32_f16 v34, v109, v105, v34
	;;#ASMEND
	;; [unrolled: 3-line block ×4, first 2 shown]
	s_waitcnt lgkmcnt(0)
	;;#ASMSTART
	v_dot2_f32_f16 v36, v108, v124, v36
	;;#ASMEND
	;;#ASMSTART
	v_dot2_f32_f16 v36, v109, v125, v36
	;;#ASMEND
	;; [unrolled: 3-line block ×28, first 2 shown]
	ds_read_b128 v[104:107], v71 offset:832
	ds_read_b128 v[108:111], v70 offset:64
	;; [unrolled: 1-line block ×6, first 2 shown]
	s_waitcnt lgkmcnt(4)
	;;#ASMSTART
	v_dot2_f32_f16 v34, v108, v104, v34
	;;#ASMEND
	;;#ASMSTART
	v_dot2_f32_f16 v34, v109, v105, v34
	;;#ASMEND
	;; [unrolled: 3-line block ×4, first 2 shown]
	s_waitcnt lgkmcnt(0)
	;;#ASMSTART
	v_dot2_f32_f16 v36, v108, v124, v36
	;;#ASMEND
	;;#ASMSTART
	v_dot2_f32_f16 v36, v109, v125, v36
	;;#ASMEND
	;; [unrolled: 3-line block ×28, first 2 shown]
	ds_read_b128 v[104:107], v71 offset:848
	ds_read_b128 v[108:111], v70 offset:80
	;; [unrolled: 1-line block ×6, first 2 shown]
	s_waitcnt lgkmcnt(4)
	;;#ASMSTART
	v_dot2_f32_f16 v34, v108, v104, v34
	;;#ASMEND
	;;#ASMSTART
	v_dot2_f32_f16 v34, v109, v105, v34
	;;#ASMEND
	;;#ASMSTART
	v_dot2_f32_f16 v34, v110, v106, v34
	;;#ASMEND
	;;#ASMSTART
	v_dot2_f32_f16 v34, v111, v107, v34
	;;#ASMEND
	s_waitcnt lgkmcnt(0)
	;;#ASMSTART
	v_dot2_f32_f16 v36, v108, v124, v36
	;;#ASMEND
	;;#ASMSTART
	v_dot2_f32_f16 v36, v109, v125, v36
	;;#ASMEND
	;; [unrolled: 3-line block ×28, first 2 shown]
	ds_read_b128 v[104:107], v71 offset:864
	ds_read_b128 v[108:111], v70 offset:96
	ds_read_b128 v[112:115], v77 offset:4608
	ds_read_b128 v[116:119], v77 offset:9216
	ds_read_b128 v[120:123], v77 offset:13824
	ds_read_b128 v[124:127], v71 offset:1888
	s_waitcnt lgkmcnt(4)
	;;#ASMSTART
	v_dot2_f32_f16 v34, v108, v104, v34
	;;#ASMEND
	;;#ASMSTART
	v_dot2_f32_f16 v34, v109, v105, v34
	;;#ASMEND
	;; [unrolled: 3-line block ×4, first 2 shown]
	s_waitcnt lgkmcnt(0)
	;;#ASMSTART
	v_dot2_f32_f16 v36, v108, v124, v36
	;;#ASMEND
	;;#ASMSTART
	v_dot2_f32_f16 v36, v109, v125, v36
	;;#ASMEND
	;; [unrolled: 3-line block ×28, first 2 shown]
	ds_read_b128 v[104:107], v71 offset:880
	ds_read_b128 v[108:111], v70 offset:112
	;; [unrolled: 1-line block ×6, first 2 shown]
	s_waitcnt lgkmcnt(4)
	;;#ASMSTART
	v_dot2_f32_f16 v34, v108, v104, v34
	;;#ASMEND
	;;#ASMSTART
	v_dot2_f32_f16 v34, v109, v105, v34
	;;#ASMEND
	;; [unrolled: 3-line block ×4, first 2 shown]
	s_waitcnt lgkmcnt(0)
	;;#ASMSTART
	v_dot2_f32_f16 v36, v108, v124, v36
	;;#ASMEND
	;;#ASMSTART
	v_dot2_f32_f16 v36, v109, v125, v36
	;;#ASMEND
	;;#ASMSTART
	v_dot2_f32_f16 v36, v110, v126, v36
	;;#ASMEND
	;;#ASMSTART
	v_dot2_f32_f16 v36, v111, v127, v36
	;;#ASMEND
	;;#ASMSTART
	v_dot2_f32_f16 v35, v112, v104, v35
	;;#ASMEND
	;;#ASMSTART
	v_dot2_f32_f16 v35, v113, v105, v35
	;;#ASMEND
	;;#ASMSTART
	v_dot2_f32_f16 v35, v114, v106, v35
	;;#ASMEND
	;;#ASMSTART
	v_dot2_f32_f16 v35, v115, v107, v35
	;;#ASMEND
	;;#ASMSTART
	v_dot2_f32_f16 v37, v112, v124, v37
	;;#ASMEND
	;;#ASMSTART
	v_dot2_f32_f16 v37, v113, v125, v37
	;;#ASMEND
	;;#ASMSTART
	v_dot2_f32_f16 v37, v114, v126, v37
	;;#ASMEND
	;;#ASMSTART
	v_dot2_f32_f16 v37, v115, v127, v37
	;;#ASMEND
	;;#ASMSTART
	v_dot2_f32_f16 v38, v116, v104, v38
	;;#ASMEND
	;;#ASMSTART
	v_dot2_f32_f16 v38, v117, v105, v38
	;;#ASMEND
	;;#ASMSTART
	v_dot2_f32_f16 v38, v118, v106, v38
	;;#ASMEND
	;;#ASMSTART
	v_dot2_f32_f16 v38, v119, v107, v38
	;;#ASMEND
	;;#ASMSTART
	v_dot2_f32_f16 v39, v116, v124, v39
	;;#ASMEND
	;;#ASMSTART
	v_dot2_f32_f16 v39, v117, v125, v39
	;;#ASMEND
	;;#ASMSTART
	v_dot2_f32_f16 v39, v118, v126, v39
	;;#ASMEND
	;;#ASMSTART
	v_dot2_f32_f16 v39, v119, v127, v39
	;;#ASMEND
	;;#ASMSTART
	v_dot2_f32_f16 v40, v120, v104, v40
	;;#ASMEND
	;;#ASMSTART
	v_dot2_f32_f16 v40, v121, v105, v40
	;;#ASMEND
	;;#ASMSTART
	v_dot2_f32_f16 v40, v122, v106, v40
	;;#ASMEND
	;;#ASMSTART
	v_dot2_f32_f16 v40, v123, v107, v40
	;;#ASMEND
	;;#ASMSTART
	v_dot2_f32_f16 v41, v120, v124, v41
	;;#ASMEND
	;;#ASMSTART
	v_dot2_f32_f16 v41, v121, v125, v41
	;;#ASMEND
	;;#ASMSTART
	v_dot2_f32_f16 v41, v122, v126, v41
	;;#ASMEND
	;;#ASMSTART
	v_dot2_f32_f16 v41, v123, v127, v41
	;;#ASMEND
	s_barrier
	global_load_dwordx4 v[104:107], v[4:5], off offset:896
	global_load_dwordx4 v[108:111], v[2:3], off offset:896
	s_waitcnt vmcnt(1)
	ds_write_b128 v68, v[104:107]
	s_waitcnt vmcnt(0)
	ds_write_b128 v69, v[108:111]
	s_waitcnt lgkmcnt(0)
	s_barrier
	ds_read_b128 v[2:5], v71 offset:896
	ds_read_b128 v[104:107], v70
	ds_read_b128 v[108:111], v70 offset:4608
	ds_read_b128 v[112:115], v70 offset:9216
	;; [unrolled: 1-line block ×4, first 2 shown]
	s_waitcnt lgkmcnt(4)
	;;#ASMSTART
	v_dot2_f32_f16 v34, v104, v2, v34
	;;#ASMEND
	;;#ASMSTART
	v_dot2_f32_f16 v34, v105, v3, v34
	;;#ASMEND
	;; [unrolled: 3-line block ×4, first 2 shown]
	s_waitcnt lgkmcnt(0)
	;;#ASMSTART
	v_dot2_f32_f16 v36, v104, v120, v36
	;;#ASMEND
	;;#ASMSTART
	v_dot2_f32_f16 v36, v105, v121, v36
	;;#ASMEND
	;; [unrolled: 3-line block ×28, first 2 shown]
	ds_read_b128 v[2:5], v71 offset:912
	ds_read_b128 v[104:107], v70 offset:16
	;; [unrolled: 1-line block ×6, first 2 shown]
	s_waitcnt lgkmcnt(4)
	;;#ASMSTART
	v_dot2_f32_f16 v34, v104, v2, v34
	;;#ASMEND
	;;#ASMSTART
	v_dot2_f32_f16 v34, v105, v3, v34
	;;#ASMEND
	;; [unrolled: 3-line block ×4, first 2 shown]
	s_waitcnt lgkmcnt(0)
	;;#ASMSTART
	v_dot2_f32_f16 v36, v104, v120, v36
	;;#ASMEND
	;;#ASMSTART
	v_dot2_f32_f16 v36, v105, v121, v36
	;;#ASMEND
	;; [unrolled: 3-line block ×28, first 2 shown]
	ds_read_b128 v[2:5], v71 offset:928
	ds_read_b128 v[104:107], v70 offset:32
	;; [unrolled: 1-line block ×6, first 2 shown]
	s_waitcnt lgkmcnt(4)
	;;#ASMSTART
	v_dot2_f32_f16 v34, v104, v2, v34
	;;#ASMEND
	;;#ASMSTART
	v_dot2_f32_f16 v34, v105, v3, v34
	;;#ASMEND
	;; [unrolled: 3-line block ×4, first 2 shown]
	s_waitcnt lgkmcnt(0)
	;;#ASMSTART
	v_dot2_f32_f16 v36, v104, v120, v36
	;;#ASMEND
	;;#ASMSTART
	v_dot2_f32_f16 v36, v105, v121, v36
	;;#ASMEND
	;; [unrolled: 3-line block ×28, first 2 shown]
	ds_read_b128 v[2:5], v71 offset:944
	ds_read_b128 v[104:107], v70 offset:48
	;; [unrolled: 1-line block ×6, first 2 shown]
	s_waitcnt lgkmcnt(4)
	;;#ASMSTART
	v_dot2_f32_f16 v34, v104, v2, v34
	;;#ASMEND
	;;#ASMSTART
	v_dot2_f32_f16 v34, v105, v3, v34
	;;#ASMEND
	;; [unrolled: 3-line block ×4, first 2 shown]
	s_waitcnt lgkmcnt(0)
	;;#ASMSTART
	v_dot2_f32_f16 v36, v104, v120, v36
	;;#ASMEND
	;;#ASMSTART
	v_dot2_f32_f16 v36, v105, v121, v36
	;;#ASMEND
	;; [unrolled: 3-line block ×28, first 2 shown]
	ds_read_b128 v[2:5], v71 offset:960
	ds_read_b128 v[104:107], v70 offset:64
	;; [unrolled: 1-line block ×6, first 2 shown]
	s_waitcnt lgkmcnt(4)
	;;#ASMSTART
	v_dot2_f32_f16 v34, v104, v2, v34
	;;#ASMEND
	;;#ASMSTART
	v_dot2_f32_f16 v34, v105, v3, v34
	;;#ASMEND
	;; [unrolled: 3-line block ×4, first 2 shown]
	s_waitcnt lgkmcnt(0)
	;;#ASMSTART
	v_dot2_f32_f16 v36, v104, v120, v36
	;;#ASMEND
	;;#ASMSTART
	v_dot2_f32_f16 v36, v105, v121, v36
	;;#ASMEND
	;; [unrolled: 3-line block ×28, first 2 shown]
	ds_read_b128 v[2:5], v71 offset:976
	ds_read_b128 v[104:107], v70 offset:80
	;; [unrolled: 1-line block ×6, first 2 shown]
	s_waitcnt lgkmcnt(4)
	;;#ASMSTART
	v_dot2_f32_f16 v34, v104, v2, v34
	;;#ASMEND
	;;#ASMSTART
	v_dot2_f32_f16 v34, v105, v3, v34
	;;#ASMEND
	;; [unrolled: 3-line block ×4, first 2 shown]
	s_waitcnt lgkmcnt(0)
	;;#ASMSTART
	v_dot2_f32_f16 v36, v104, v120, v36
	;;#ASMEND
	;;#ASMSTART
	v_dot2_f32_f16 v36, v105, v121, v36
	;;#ASMEND
	;; [unrolled: 3-line block ×28, first 2 shown]
	ds_read_b128 v[2:5], v71 offset:992
	ds_read_b128 v[104:107], v70 offset:96
	;; [unrolled: 1-line block ×6, first 2 shown]
	s_waitcnt lgkmcnt(4)
	;;#ASMSTART
	v_dot2_f32_f16 v34, v104, v2, v34
	;;#ASMEND
	;;#ASMSTART
	v_dot2_f32_f16 v34, v105, v3, v34
	;;#ASMEND
	;; [unrolled: 3-line block ×4, first 2 shown]
	s_waitcnt lgkmcnt(0)
	;;#ASMSTART
	v_dot2_f32_f16 v36, v104, v120, v36
	;;#ASMEND
	;;#ASMSTART
	v_dot2_f32_f16 v36, v105, v121, v36
	;;#ASMEND
	;; [unrolled: 3-line block ×28, first 2 shown]
	ds_read_b128 v[2:5], v71 offset:1008
	ds_read_b128 v[104:107], v70 offset:112
	;; [unrolled: 1-line block ×6, first 2 shown]
	s_waitcnt lgkmcnt(4)
	;;#ASMSTART
	v_dot2_f32_f16 v34, v104, v2, v34
	;;#ASMEND
	;;#ASMSTART
	v_dot2_f32_f16 v34, v105, v3, v34
	;;#ASMEND
	;;#ASMSTART
	v_dot2_f32_f16 v34, v106, v4, v34
	;;#ASMEND
	;;#ASMSTART
	v_dot2_f32_f16 v34, v107, v5, v34
	;;#ASMEND
	s_waitcnt lgkmcnt(0)
	;;#ASMSTART
	v_dot2_f32_f16 v36, v104, v120, v36
	;;#ASMEND
	;;#ASMSTART
	v_dot2_f32_f16 v36, v105, v121, v36
	;;#ASMEND
	;; [unrolled: 3-line block ×26, first 2 shown]
	v_mov_b32_e32 v7, s15
	v_add_co_u32_e64 v52, s[0:1], s14, v83
	v_mov_b32_e32 v43, s9
	v_add_co_u32_e64 v50, s[2:3], s8, v83
	;; [unrolled: 2-line block ×5, first 2 shown]
	;;#ASMSTART
	v_dot2_f32_f16 v41, v118, v122, v41
	;;#ASMEND
	v_addc_co_u32_e32 v55, vcc, v84, v6, vcc
	v_addc_co_u32_e64 v51, vcc, v84, v43, s[2:3]
	v_addc_co_u32_e64 v49, vcc, v84, v45, s[8:9]
	;; [unrolled: 1-line block ×4, first 2 shown]
	;;#ASMSTART
	v_dot2_f32_f16 v41, v119, v123, v41
	;;#ASMEND
	flat_load_ushort v58, v[0:1] offset:64
	flat_load_ushort v59, v[0:1]
	flat_load_ushort v103, v[0:1] offset:128
	flat_load_ushort v105, v[0:1] offset:192
	v_addc_co_u32_e64 v53, vcc, v84, v7, s[0:1]
	s_waitcnt lgkmcnt(0)
	s_barrier
	global_load_dwordx4 v[0:3], v[56:57], off
	global_load_dwordx4 v[4:7], v[56:57], off offset:512
	s_lshl_b64 s[10:11], s[10:11], 2
	v_mov_b32_e32 v47, s11
	v_add_co_u32_e64 v46, s[10:11], s10, v83
	v_addc_co_u32_e64 v47, vcc, v84, v47, s[10:11]
	s_waitcnt vmcnt(0)
	v_cvt_f32_f16_e32 v57, v58
	v_cvt_f32_f16_e32 v56, v59
	;; [unrolled: 1-line block ×4, first 2 shown]
	v_pk_add_f32 v[58:59], v[36:37], v[56:57]
	v_pk_add_f32 v[36:37], v[34:35], v[56:57]
	v_pk_add_f32 v[38:39], v[38:39], v[104:105] op_sel_hi:[1,0]
	v_pk_add_f32 v[40:41], v[40:41], v[106:107] op_sel_hi:[1,0]
	v_mov_b32_e32 v104, v36
	v_mov_b32_e32 v105, v58
	;; [unrolled: 1-line block ×4, first 2 shown]
	v_pk_add_f32 v[104:105], v[104:105], s[6:7] op_sel_hi:[1,0]
	v_pk_add_f32 v[106:107], v[106:107], s[6:7] op_sel_hi:[1,0]
	;; [unrolled: 1-line block ×4, first 2 shown]
	v_max3_f32 v103, v30, v104, v106
	v_max3_f32 v104, v31, v105, v107
	;; [unrolled: 1-line block ×4, first 2 shown]
	ds_bpermute_b32 v56, v102, v35
	ds_bpermute_b32 v57, v102, v34
	s_waitcnt lgkmcnt(1)
	v_max_f32_e32 v56, v56, v56
	s_waitcnt lgkmcnt(0)
	v_max_f32_e32 v57, v57, v57
	v_max_f32_e32 v35, v35, v56
	v_max_f32_e32 v34, v34, v57
	ds_bpermute_b32 v56, v101, v35
	ds_bpermute_b32 v57, v101, v34
	s_waitcnt lgkmcnt(1)
	v_max_f32_e32 v56, v56, v56
	s_waitcnt lgkmcnt(0)
	v_max_f32_e32 v57, v57, v57
	v_max_f32_e32 v35, v35, v56
	v_max_f32_e32 v34, v34, v57
	;; [unrolled: 8-line block ×5, first 2 shown]
	v_pk_add_f32 v[36:37], v[36:37], v[34:35] op_sel_hi:[1,0] neg_lo:[0,1] neg_hi:[0,1]
	v_pk_add_f32 v[56:57], v[38:39], v[34:35] neg_lo:[0,1] neg_hi:[0,1]
	v_mov_b32_e32 v60, v35
	v_pk_add_f32 v[40:41], v[40:41], v[34:35] neg_lo:[0,1] neg_hi:[0,1]
	v_pk_add_f32 v[38:39], v[30:31], v[34:35] neg_lo:[0,1] neg_hi:[0,1]
	v_mul_f32_e32 v99, 0x3fb8aa3b, v37
	v_mul_f32_e32 v100, 0x3fb8aa3b, v36
	;; [unrolled: 1-line block ×4, first 2 shown]
	v_pk_add_f32 v[58:59], v[58:59], v[60:61] op_sel_hi:[1,0] neg_lo:[0,1] neg_hi:[0,1]
	v_mul_f32_e32 v60, 0x3fb8aa3b, v41
	v_mul_f32_e32 v103, 0x3fb8aa3b, v40
	;; [unrolled: 1-line block ×4, first 2 shown]
	v_fma_f32 v106, v37, s41, -v99
	v_rndne_f32_e32 v107, v99
	v_fma_f32 v108, v36, s41, -v100
	v_rndne_f32_e32 v109, v100
	;; [unrolled: 2-line block ×4, first 2 shown]
	v_mul_f32_e32 v114, 0x3fb8aa3b, v59
	v_mul_f32_e32 v115, 0x3fb8aa3b, v58
	v_fma_f32 v116, v41, s41, -v60
	v_rndne_f32_e32 v117, v60
	v_fma_f32 v118, v40, s41, -v103
	v_rndne_f32_e32 v119, v103
	;; [unrolled: 2-line block ×4, first 2 shown]
	v_fmac_f32_e32 v106, 0x32a5705f, v37
	v_sub_f32_e32 v99, v99, v107
	v_fmac_f32_e32 v108, 0x32a5705f, v36
	v_sub_f32_e32 v100, v100, v109
	;; [unrolled: 2-line block ×4, first 2 shown]
	v_fma_f32 v124, v59, s41, -v114
	v_rndne_f32_e32 v125, v114
	v_fma_f32 v126, v58, s41, -v115
	v_rndne_f32_e32 v127, v115
	v_fmac_f32_e32 v116, 0x32a5705f, v41
	v_sub_f32_e32 v60, v60, v117
	v_fmac_f32_e32 v118, 0x32a5705f, v40
	v_sub_f32_e32 v103, v103, v119
	;; [unrolled: 2-line block ×4, first 2 shown]
	v_add_f32_e32 v99, v99, v106
	v_add_f32_e32 v100, v100, v108
	;; [unrolled: 1-line block ×4, first 2 shown]
	v_fmac_f32_e32 v124, 0x32a5705f, v59
	v_sub_f32_e32 v106, v114, v125
	v_fmac_f32_e32 v126, 0x32a5705f, v58
	v_sub_f32_e32 v110, v115, v127
	v_cvt_i32_f32_e32 v107, v107
	v_cvt_i32_f32_e32 v109, v109
	;; [unrolled: 1-line block ×4, first 2 shown]
	v_add_f32_e32 v60, v60, v116
	v_add_f32_e32 v103, v103, v118
	;; [unrolled: 1-line block ×4, first 2 shown]
	v_exp_f32_e32 v99, v99
	v_exp_f32_e32 v100, v100
	;; [unrolled: 1-line block ×4, first 2 shown]
	v_add_f32_e32 v106, v106, v124
	v_add_f32_e32 v110, v110, v126
	v_cvt_i32_f32_e32 v117, v117
	v_cvt_i32_f32_e32 v119, v119
	v_cvt_i32_f32_e32 v121, v121
	v_cvt_i32_f32_e32 v123, v123
	v_cvt_i32_f32_e32 v108, v125
	v_cvt_i32_f32_e32 v112, v127
	v_exp_f32_e32 v60, v60
	v_exp_f32_e32 v103, v103
	;; [unrolled: 1-line block ×6, first 2 shown]
	v_ldexp_f32 v99, v99, v107
	v_ldexp_f32 v100, v100, v109
	v_cmp_ngt_f32_e32 vcc, s43, v36
	v_ldexp_f32 v101, v101, v111
	v_cmp_ngt_f32_e64 s[0:1], s43, v57
	v_ldexp_f32 v102, v102, v113
	v_cmp_ngt_f32_e64 s[2:3], s43, v56
	v_cmp_ngt_f32_e64 s[16:17], s43, v37
	v_ldexp_f32 v60, v60, v117
	v_cmp_ngt_f32_e64 s[8:9], s43, v41
	v_ldexp_f32 v103, v103, v119
	;; [unrolled: 2-line block ×4, first 2 shown]
	v_cmp_ngt_f32_e64 s[14:15], s43, v38
	v_cndmask_b32_e64 v99, 0, v99, s[16:17]
	v_cndmask_b32_e32 v100, 0, v100, vcc
	v_cmp_nlt_f32_e32 vcc, s44, v36
	v_cndmask_b32_e64 v101, 0, v101, s[0:1]
	v_cmp_nlt_f32_e64 s[0:1], s44, v57
	v_cndmask_b32_e64 v57, 0, v102, s[2:3]
	v_cmp_nlt_f32_e64 s[2:3], s44, v56
	v_ldexp_f32 v56, v106, v108
	v_cmp_ngt_f32_e64 s[16:17], s43, v59
	v_ldexp_f32 v102, v110, v112
	v_cmp_ngt_f32_e64 s[18:19], s43, v58
	v_cmp_nlt_f32_e64 s[20:21], s44, v37
	v_cndmask_b32_e64 v60, 0, v60, s[8:9]
	v_cmp_nlt_f32_e64 s[8:9], s44, v41
	v_cndmask_b32_e64 v103, 0, v103, s[10:11]
	;; [unrolled: 2-line block ×5, first 2 shown]
	v_cndmask_b32_e32 v38, v87, v100, vcc
	v_cndmask_b32_e64 v41, v87, v101, s[0:1]
	v_cndmask_b32_e64 v37, 0, v56, s[16:17]
	;; [unrolled: 1-line block ×3, first 2 shown]
	v_cmp_nlt_f32_e32 vcc, s44, v58
	v_cmp_nlt_f32_e64 s[0:1], s44, v59
	v_cndmask_b32_e64 v40, v87, v57, s[2:3]
	v_cndmask_b32_e64 v57, v87, v60, s[8:9]
	;; [unrolled: 1-line block ×6, first 2 shown]
	v_cndmask_b32_e32 v39, v87, v99, vcc
	v_cvt_f16_f32_e32 v58, v38
	v_cvt_f16_f32_e32 v59, v36
	;; [unrolled: 1-line block ×10, first 2 shown]
	v_pk_add_f32 v[36:37], v[38:39], v[36:37]
	v_pk_add_f32 v[36:37], v[40:41], v[36:37]
	;; [unrolled: 1-line block ×3, first 2 shown]
	v_pack_b32_f16 v38, v99, v60
	v_pk_mul_f16 v229, v223, v10 op_sel_hi:[0,1]
	v_pk_mul_f16 v231, v223, v8 op_sel_hi:[0,1]
	;; [unrolled: 1-line block ×3, first 2 shown]
	v_pack_b32_f16 v8, v102, v103
	v_pack_b32_f16 v9, v58, v104
	;; [unrolled: 1-line block ×3, first 2 shown]
	v_pk_fma_f32 v[22:23], v[22:23], v[100:101], v[36:37]
	v_pk_mul_f16 v40, v222, v98 op_sel_hi:[0,1]
	v_pk_mul_f16 v41, v222, v18 op_sel_hi:[0,1]
	;; [unrolled: 1-line block ×10, first 2 shown]
	ds_write2_b32 v88, v9, v10 offset1:32
	ds_write2_b32 v88, v38, v8 offset0:64 offset1:96
	ds_write_b128 v80, v[0:3]
	ds_write_b128 v81, v[4:7]
	s_waitcnt lgkmcnt(0)
	s_barrier
	ds_read2_b64 v[36:39], v82 offset1:32
	ds_read2_b64 v[56:59], v82 offset0:64 offset1:96
	ds_read_b128 v[98:101], v79
	ds_read_b128 v[102:105], v79 offset:16
	ds_read_b128 v[106:109], v79 offset:32
	;; [unrolled: 1-line block ×3, first 2 shown]
	ds_read2_b64 v[110:113], v82 offset0:128 offset1:160
	ds_read2_b64 v[114:117], v82 offset0:192 offset1:224
	ds_read2_b64 v[118:121], v89 offset1:32
	ds_read2_b64 v[122:125], v89 offset0:64 offset1:96
	ds_read2_b64 v[126:129], v89 offset0:128 offset1:160
	ds_read2_b64 v[130:133], v89 offset0:192 offset1:224
	ds_read2_b64 v[134:137], v90 offset1:32
	ds_read2_b64 v[138:141], v90 offset0:64 offset1:96
	;; [unrolled: 4-line block ×7, first 2 shown]
	ds_read2_b64 v[4:7], v95 offset0:128 offset1:160
	ds_read2_b64 v[16:19], v95 offset0:192 offset1:224
	s_waitcnt lgkmcnt(0)
	s_barrier
	global_load_dwordx4 v[8:11], v[54:55], off
	global_load_dwordx4 v[12:15], v[54:55], off offset:512
	v_pk_mul_f16 v54, v36, v98 op_sel_hi:[1,0]
	v_pk_mul_f16 v36, v36, v98 op_sel:[0,1]
	v_pk_mul_f16 v55, v37, v98 op_sel_hi:[1,0]
	v_pk_fma_f16 v37, v37, v98, v227 op_sel:[0,1,0]
	v_pk_fma_f16 v40, v38, v98, v40 op_sel_hi:[1,0,1]
	v_pk_fma_f16 v38, v38, v98, v228 op_sel:[0,1,0]
	v_pk_fma_f16 v41, v39, v98, v41 op_sel_hi:[1,0,1]
	v_pk_fma_f16 v39, v39, v98, v229 op_sel:[0,1,0]
	v_pk_fma_f16 v60, v56, v98, v60 op_sel_hi:[1,0,1]
	v_pk_fma_f16 v56, v56, v98, v230 op_sel:[0,1,0]
	v_pk_fma_f16 v224, v57, v98, v224 op_sel_hi:[1,0,1]
	v_pk_fma_f16 v57, v57, v98, v231 op_sel:[0,1,0]
	v_pk_fma_f16 v225, v58, v98, v225 op_sel_hi:[1,0,1]
	v_pk_fma_f16 v58, v58, v98, v232 op_sel:[0,1,0]
	v_pk_fma_f16 v226, v59, v98, v226 op_sel_hi:[1,0,1]
	v_pk_fma_f16 v59, v59, v98, v233 op_sel:[0,1,0]
	v_pk_fma_f16 v54, v222, v97, v54 op_sel_hi:[0,1,1]
	v_pk_fma_f16 v36, v223, v96, v36 op_sel_hi:[0,1,1]
	v_pk_fma_f16 v32, v222, v32, v55 op_sel_hi:[0,1,1]
	v_pk_fma_f16 v37, v111, v99, v37 op_sel:[0,1,0]
	v_pk_fma_f16 v40, v112, v99, v40 op_sel_hi:[1,0,1]
	v_pk_fma_f16 v38, v112, v99, v38 op_sel:[0,1,0]
	;; [unrolled: 2-line block ×120, first 2 shown]
	v_pk_fma_f16 v229, v5, v3, v0 op_sel_hi:[1,0,1]
	s_waitcnt vmcnt(1)
	ds_write_b128 v80, v[8:11]
	s_waitcnt vmcnt(0)
	ds_write_b128 v81, v[12:15]
	s_waitcnt lgkmcnt(0)
	s_barrier
	ds_read2_b64 v[16:19], v82 offset1:32
	ds_read2_b64 v[36:39], v82 offset0:64 offset1:96
	ds_read_b128 v[54:57], v79 offset:64
	ds_read_b128 v[96:99], v79 offset:80
	;; [unrolled: 1-line block ×4, first 2 shown]
	ds_read2_b64 v[104:107], v82 offset0:128 offset1:160
	ds_read2_b64 v[108:111], v82 offset0:192 offset1:224
	ds_read2_b64 v[112:115], v89 offset1:32
	ds_read2_b64 v[116:119], v89 offset0:64 offset1:96
	ds_read2_b64 v[120:123], v89 offset0:128 offset1:160
	ds_read2_b64 v[124:127], v89 offset0:192 offset1:224
	ds_read2_b64 v[128:131], v90 offset1:32
	ds_read2_b64 v[132:135], v90 offset0:64 offset1:96
	;; [unrolled: 4-line block ×7, first 2 shown]
	ds_read2_b64 v[216:219], v95 offset0:128 offset1:160
	ds_read2_b64 v[4:7], v95 offset0:192 offset1:224
	s_waitcnt lgkmcnt(0)
	s_barrier
	global_load_dwordx4 v[8:11], v[52:53], off
	global_load_dwordx4 v[12:15], v[52:53], off offset:512
	v_pk_fma_f16 v52, v16, v54, v227 op_sel_hi:[1,0,1]
	v_pk_fma_f16 v16, v16, v54, v228 op_sel:[0,1,0]
	v_pk_fma_f16 v53, v17, v54, v229 op_sel_hi:[1,0,1]
	v_pk_fma_f16 v17, v17, v54, v220 op_sel:[0,1,0]
	;; [unrolled: 2-line block ×128, first 2 shown]
	s_waitcnt vmcnt(1)
	ds_write_b128 v80, v[8:11]
	s_waitcnt vmcnt(0)
	ds_write_b128 v81, v[12:15]
	s_waitcnt lgkmcnt(0)
	s_barrier
	ds_read2_b64 v[16:19], v82 offset1:32
	ds_read2_b64 v[36:39], v82 offset0:64 offset1:96
	ds_read_b128 v[52:55], v79 offset:128
	ds_read_b128 v[56:59], v79 offset:144
	;; [unrolled: 1-line block ×4, first 2 shown]
	ds_read2_b64 v[100:103], v82 offset0:128 offset1:160
	ds_read2_b64 v[104:107], v82 offset0:192 offset1:224
	ds_read2_b64 v[108:111], v89 offset1:32
	ds_read2_b64 v[112:115], v89 offset0:64 offset1:96
	ds_read2_b64 v[116:119], v89 offset0:128 offset1:160
	ds_read2_b64 v[120:123], v89 offset0:192 offset1:224
	ds_read2_b64 v[124:127], v90 offset1:32
	ds_read2_b64 v[128:131], v90 offset0:64 offset1:96
	ds_read2_b64 v[132:135], v90 offset0:128 offset1:160
	ds_read2_b64 v[136:139], v90 offset0:192 offset1:224
	ds_read2_b64 v[140:143], v91 offset1:32
	ds_read2_b64 v[144:147], v91 offset0:64 offset1:96
	ds_read2_b64 v[148:151], v91 offset0:128 offset1:160
	ds_read2_b64 v[152:155], v91 offset0:192 offset1:224
	ds_read2_b64 v[156:159], v92 offset1:32
	ds_read2_b64 v[160:163], v92 offset0:64 offset1:96
	ds_read2_b64 v[164:167], v92 offset0:128 offset1:160
	ds_read2_b64 v[168:171], v92 offset0:192 offset1:224
	ds_read2_b64 v[172:175], v93 offset1:32
	ds_read2_b64 v[176:179], v93 offset0:64 offset1:96
	ds_read2_b64 v[180:183], v93 offset0:128 offset1:160
	ds_read2_b64 v[184:187], v93 offset0:192 offset1:224
	ds_read2_b64 v[188:191], v94 offset1:32
	ds_read2_b64 v[192:195], v94 offset0:64 offset1:96
	ds_read2_b64 v[196:199], v94 offset0:128 offset1:160
	ds_read2_b64 v[200:203], v94 offset0:192 offset1:224
	ds_read2_b64 v[204:207], v95 offset1:32
	ds_read2_b64 v[208:211], v95 offset0:64 offset1:96
	ds_read2_b64 v[212:215], v95 offset0:128 offset1:160
	ds_read2_b64 v[4:7], v95 offset0:192 offset1:224
	s_waitcnt lgkmcnt(0)
	s_barrier
	global_load_dwordx4 v[8:11], v[50:51], off
	global_load_dwordx4 v[12:15], v[50:51], off offset:512
	v_pk_fma_f16 v50, v16, v52, v60 op_sel_hi:[1,0,1]
	v_pk_fma_f16 v16, v16, v52, v216 op_sel:[0,1,0]
	v_pk_fma_f16 v51, v17, v52, v220 op_sel_hi:[1,0,1]
	v_pk_fma_f16 v17, v17, v52, v217 op_sel:[0,1,0]
	;; [unrolled: 2-line block ×128, first 2 shown]
	s_waitcnt vmcnt(1)
	ds_write_b128 v80, v[8:11]
	s_waitcnt vmcnt(0)
	ds_write_b128 v81, v[12:15]
	s_waitcnt lgkmcnt(0)
	s_barrier
	ds_read2_b64 v[16:19], v82 offset1:32
	ds_read2_b64 v[36:39], v82 offset0:64 offset1:96
	ds_read_b128 v[50:53], v79 offset:192
	ds_read_b128 v[54:57], v79 offset:208
	;; [unrolled: 1-line block ×4, first 2 shown]
	ds_read2_b64 v[100:103], v82 offset0:128 offset1:160
	ds_read2_b64 v[104:107], v82 offset0:192 offset1:224
	ds_read2_b64 v[108:111], v89 offset1:32
	ds_read2_b64 v[112:115], v89 offset0:64 offset1:96
	ds_read2_b64 v[116:119], v89 offset0:128 offset1:160
	ds_read2_b64 v[120:123], v89 offset0:192 offset1:224
	ds_read2_b64 v[124:127], v90 offset1:32
	ds_read2_b64 v[128:131], v90 offset0:64 offset1:96
	;; [unrolled: 4-line block ×7, first 2 shown]
	ds_read2_b64 v[212:215], v95 offset0:128 offset1:160
	ds_read2_b64 v[4:7], v95 offset0:192 offset1:224
	s_waitcnt lgkmcnt(0)
	s_barrier
	global_load_dwordx4 v[8:11], v[48:49], off
	global_load_dwordx4 v[12:15], v[48:49], off offset:512
	v_pk_fma_f16 v48, v16, v50, v58 op_sel_hi:[1,0,1]
	v_pk_fma_f16 v16, v16, v50, v59 op_sel:[0,1,0]
	v_pk_fma_f16 v49, v17, v50, v60 op_sel_hi:[1,0,1]
	v_pk_fma_f16 v17, v17, v50, v216 op_sel:[0,1,0]
	;; [unrolled: 2-line block ×128, first 2 shown]
	s_waitcnt vmcnt(1)
	ds_write_b128 v80, v[8:11]
	s_waitcnt vmcnt(0)
	ds_write_b128 v81, v[12:15]
	s_waitcnt lgkmcnt(0)
	s_barrier
	ds_read2_b64 v[16:19], v82 offset1:32
	ds_read2_b64 v[36:39], v82 offset0:64 offset1:96
	ds_read_b128 v[48:51], v79 offset:256
	ds_read_b128 v[52:55], v79 offset:272
	;; [unrolled: 1-line block ×4, first 2 shown]
	ds_read2_b64 v[96:99], v82 offset0:128 offset1:160
	ds_read2_b64 v[100:103], v82 offset0:192 offset1:224
	ds_read2_b64 v[104:107], v89 offset1:32
	ds_read2_b64 v[108:111], v89 offset0:64 offset1:96
	ds_read2_b64 v[112:115], v89 offset0:128 offset1:160
	ds_read2_b64 v[116:119], v89 offset0:192 offset1:224
	ds_read2_b64 v[120:123], v90 offset1:32
	ds_read2_b64 v[124:127], v90 offset0:64 offset1:96
	;; [unrolled: 4-line block ×7, first 2 shown]
	ds_read2_b64 v[208:211], v95 offset0:128 offset1:160
	ds_read2_b64 v[4:7], v95 offset0:192 offset1:224
	s_waitcnt lgkmcnt(0)
	s_barrier
	global_load_dwordx4 v[8:11], v[46:47], off
	global_load_dwordx4 v[12:15], v[46:47], off offset:512
	v_pk_fma_f16 v46, v16, v48, v60 op_sel_hi:[1,0,1]
	v_pk_fma_f16 v16, v16, v48, v212 op_sel:[0,1,0]
	v_pk_fma_f16 v47, v17, v48, v216 op_sel_hi:[1,0,1]
	v_pk_fma_f16 v17, v17, v48, v213 op_sel:[0,1,0]
	;; [unrolled: 2-line block ×128, first 2 shown]
	s_waitcnt vmcnt(1)
	ds_write_b128 v80, v[8:11]
	s_waitcnt vmcnt(0)
	ds_write_b128 v81, v[12:15]
	s_waitcnt lgkmcnt(0)
	s_barrier
	ds_read2_b64 v[16:19], v82 offset1:32
	ds_read2_b64 v[36:39], v82 offset0:64 offset1:96
	ds_read_b128 v[46:49], v79 offset:320
	ds_read_b128 v[50:53], v79 offset:336
	;; [unrolled: 1-line block ×4, first 2 shown]
	ds_read2_b64 v[96:99], v82 offset0:128 offset1:160
	ds_read2_b64 v[100:103], v82 offset0:192 offset1:224
	ds_read2_b64 v[104:107], v89 offset1:32
	ds_read2_b64 v[108:111], v89 offset0:64 offset1:96
	ds_read2_b64 v[112:115], v89 offset0:128 offset1:160
	ds_read2_b64 v[116:119], v89 offset0:192 offset1:224
	ds_read2_b64 v[120:123], v90 offset1:32
	ds_read2_b64 v[124:127], v90 offset0:64 offset1:96
	;; [unrolled: 4-line block ×7, first 2 shown]
	ds_read2_b64 v[208:211], v95 offset0:128 offset1:160
	ds_read2_b64 v[4:7], v95 offset0:192 offset1:224
	s_waitcnt lgkmcnt(0)
	s_barrier
	global_load_dwordx4 v[8:11], v[44:45], off
	global_load_dwordx4 v[12:15], v[44:45], off offset:512
	v_pk_fma_f16 v44, v16, v46, v58 op_sel_hi:[1,0,1]
	v_pk_fma_f16 v16, v16, v46, v59 op_sel:[0,1,0]
	v_pk_fma_f16 v45, v17, v46, v60 op_sel_hi:[1,0,1]
	v_pk_fma_f16 v17, v17, v46, v212 op_sel:[0,1,0]
	;; [unrolled: 2-line block ×128, first 2 shown]
	s_waitcnt vmcnt(1)
	ds_write_b128 v80, v[8:11]
	s_waitcnt vmcnt(0)
	ds_write_b128 v81, v[12:15]
	s_waitcnt lgkmcnt(0)
	s_barrier
	ds_read2_b64 v[16:19], v82 offset1:32
	ds_read2_b64 v[36:39], v82 offset0:64 offset1:96
	ds_read_b128 v[44:47], v79 offset:384
	ds_read_b128 v[48:51], v79 offset:400
	;; [unrolled: 1-line block ×4, first 2 shown]
	ds_read2_b64 v[56:59], v82 offset0:128 offset1:160
	ds_read2_b64 v[96:99], v82 offset0:192 offset1:224
	ds_read2_b64 v[100:103], v89 offset1:32
	ds_read2_b64 v[104:107], v89 offset0:64 offset1:96
	ds_read2_b64 v[108:111], v89 offset0:128 offset1:160
	ds_read2_b64 v[112:115], v89 offset0:192 offset1:224
	ds_read2_b64 v[116:119], v90 offset1:32
	ds_read2_b64 v[120:123], v90 offset0:64 offset1:96
	;; [unrolled: 4-line block ×7, first 2 shown]
	ds_read2_b64 v[204:207], v95 offset0:128 offset1:160
	ds_read2_b64 v[4:7], v95 offset0:192 offset1:224
	s_waitcnt lgkmcnt(0)
	s_barrier
	global_load_dwordx4 v[8:11], v[42:43], off
	global_load_dwordx4 v[12:15], v[42:43], off offset:512
	v_pk_fma_f16 v42, v16, v44, v60 op_sel_hi:[1,0,1]
	v_pk_fma_f16 v16, v16, v44, v208 op_sel:[0,1,0]
	v_pk_fma_f16 v43, v17, v44, v212 op_sel_hi:[1,0,1]
	v_pk_fma_f16 v17, v17, v44, v209 op_sel:[0,1,0]
	;; [unrolled: 2-line block ×128, first 2 shown]
	s_waitcnt vmcnt(1)
	ds_write_b128 v80, v[8:11]
	s_waitcnt vmcnt(0)
	ds_write_b128 v81, v[12:15]
	s_waitcnt lgkmcnt(0)
	s_barrier
	ds_read2_b64 v[12:15], v82 offset1:32
	ds_read2_b64 v[16:19], v82 offset0:64 offset1:96
	ds_read_b128 v[36:39], v79 offset:448
	ds_read_b128 v[40:43], v79 offset:464
	;; [unrolled: 1-line block ×4, first 2 shown]
	ds_read2_b64 v[48:51], v82 offset0:128 offset1:160
	ds_read2_b64 v[52:55], v82 offset0:192 offset1:224
	ds_read2_b64 v[56:59], v89 offset1:32
	ds_read2_b64 v[96:99], v89 offset0:64 offset1:96
	ds_read2_b64 v[100:103], v89 offset0:128 offset1:160
	ds_read2_b64 v[104:107], v89 offset0:192 offset1:224
	ds_read2_b64 v[108:111], v90 offset1:32
	ds_read2_b64 v[112:115], v90 offset0:64 offset1:96
	;; [unrolled: 4-line block ×7, first 2 shown]
	ds_read2_b64 v[8:11], v95 offset0:128 offset1:160
	ds_read2_b64 v[4:7], v95 offset0:192 offset1:224
	s_waitcnt lgkmcnt(14)
	v_pk_fma_f16 v60, v12, v36, v60 op_sel_hi:[1,0,1]
	v_pk_fma_f16 v12, v12, v36, v196 op_sel:[0,1,0]
	v_pk_fma_f16 v196, v13, v36, v197 op_sel_hi:[1,0,1]
	v_pk_fma_f16 v13, v13, v36, v198 op_sel:[0,1,0]
	;; [unrolled: 2-line block ×64, first 2 shown]
	s_waitcnt lgkmcnt(0)
	s_barrier
	s_load_dword s0, s[22:23], 0x4
	v_pk_fma_f16 v36, v140, v44, v36 op_sel_hi:[1,0,1]
	v_pk_fma_f16 v12, v140, v44, v12 op_sel:[0,1,0]
	v_pk_fma_f16 v37, v141, v44, v37 op_sel_hi:[1,0,1]
	v_pk_fma_f16 v13, v141, v44, v13 op_sel:[0,1,0]
	v_pk_fma_f16 v32, v142, v44, v32 op_sel_hi:[1,0,1]
	v_pk_fma_f16 v14, v142, v44, v14 op_sel:[0,1,0]
	v_pk_fma_f16 v38, v143, v44, v38 op_sel_hi:[1,0,1]
	v_pk_fma_f16 v15, v143, v44, v15 op_sel:[0,1,0]
	v_pk_fma_f16 v39, v144, v44, v39 op_sel_hi:[1,0,1]
	v_pk_fma_f16 v16, v144, v44, v16 op_sel:[0,1,0]
	v_pk_fma_f16 v40, v145, v44, v40 op_sel_hi:[1,0,1]
	v_pk_fma_f16 v17, v145, v44, v17 op_sel:[0,1,0]
	v_pk_fma_f16 v41, v146, v44, v41 op_sel_hi:[1,0,1]
	v_pk_fma_f16 v18, v146, v44, v18 op_sel:[0,1,0]
	v_pk_fma_f16 v42, v147, v44, v42 op_sel_hi:[1,0,1]
	v_pk_fma_f16 v19, v147, v44, v19 op_sel:[0,1,0]
	v_pk_fma_f16 v36, v148, v45, v36 op_sel_hi:[1,0,1]
	v_pk_fma_f16 v12, v148, v45, v12 op_sel:[0,1,0]
	v_pk_fma_f16 v37, v149, v45, v37 op_sel_hi:[1,0,1]
	v_pk_fma_f16 v13, v149, v45, v13 op_sel:[0,1,0]
	v_pk_fma_f16 v32, v150, v45, v32 op_sel_hi:[1,0,1]
	v_pk_fma_f16 v14, v150, v45, v14 op_sel:[0,1,0]
	v_pk_fma_f16 v38, v151, v45, v38 op_sel_hi:[1,0,1]
	v_pk_fma_f16 v15, v151, v45, v15 op_sel:[0,1,0]
	v_pk_fma_f16 v39, v152, v45, v39 op_sel_hi:[1,0,1]
	v_pk_fma_f16 v16, v152, v45, v16 op_sel:[0,1,0]
	v_pk_fma_f16 v40, v153, v45, v40 op_sel_hi:[1,0,1]
	v_pk_fma_f16 v17, v153, v45, v17 op_sel:[0,1,0]
	v_pk_fma_f16 v41, v154, v45, v41 op_sel_hi:[1,0,1]
	v_pk_fma_f16 v18, v154, v45, v18 op_sel:[0,1,0]
	v_pk_fma_f16 v42, v155, v45, v42 op_sel_hi:[1,0,1]
	v_pk_fma_f16 v19, v155, v45, v19 op_sel:[0,1,0]
	v_pk_fma_f16 v36, v156, v46, v36 op_sel_hi:[1,0,1]
	v_pk_fma_f16 v12, v156, v46, v12 op_sel:[0,1,0]
	v_pk_fma_f16 v37, v157, v46, v37 op_sel_hi:[1,0,1]
	v_pk_fma_f16 v13, v157, v46, v13 op_sel:[0,1,0]
	v_pk_fma_f16 v32, v158, v46, v32 op_sel_hi:[1,0,1]
	v_pk_fma_f16 v14, v158, v46, v14 op_sel:[0,1,0]
	v_pk_fma_f16 v38, v159, v46, v38 op_sel_hi:[1,0,1]
	v_pk_fma_f16 v15, v159, v46, v15 op_sel:[0,1,0]
	v_pk_fma_f16 v39, v160, v46, v39 op_sel_hi:[1,0,1]
	v_pk_fma_f16 v16, v160, v46, v16 op_sel:[0,1,0]
	v_pk_fma_f16 v40, v161, v46, v40 op_sel_hi:[1,0,1]
	v_pk_fma_f16 v17, v161, v46, v17 op_sel:[0,1,0]
	v_pk_fma_f16 v41, v162, v46, v41 op_sel_hi:[1,0,1]
	v_pk_fma_f16 v18, v162, v46, v18 op_sel:[0,1,0]
	v_pk_fma_f16 v42, v163, v46, v42 op_sel_hi:[1,0,1]
	v_pk_fma_f16 v19, v163, v46, v19 op_sel:[0,1,0]
	v_pk_fma_f16 v36, v164, v47, v36 op_sel_hi:[1,0,1]
	v_pk_fma_f16 v12, v164, v47, v12 op_sel:[0,1,0]
	v_pk_fma_f16 v37, v165, v47, v37 op_sel_hi:[1,0,1]
	v_pk_fma_f16 v13, v165, v47, v13 op_sel:[0,1,0]
	v_pk_fma_f16 v32, v166, v47, v32 op_sel_hi:[1,0,1]
	v_pk_fma_f16 v14, v166, v47, v14 op_sel:[0,1,0]
	v_pk_fma_f16 v38, v167, v47, v38 op_sel_hi:[1,0,1]
	v_pk_fma_f16 v15, v167, v47, v15 op_sel:[0,1,0]
	v_pk_fma_f16 v39, v168, v47, v39 op_sel_hi:[1,0,1]
	v_pk_fma_f16 v16, v168, v47, v16 op_sel:[0,1,0]
	v_pk_fma_f16 v40, v169, v47, v40 op_sel_hi:[1,0,1]
	v_pk_fma_f16 v17, v169, v47, v17 op_sel:[0,1,0]
	v_pk_fma_f16 v41, v170, v47, v41 op_sel_hi:[1,0,1]
	v_pk_fma_f16 v18, v170, v47, v18 op_sel:[0,1,0]
	v_pk_fma_f16 v42, v171, v47, v42 op_sel_hi:[1,0,1]
	v_pk_fma_f16 v19, v171, v47, v19 op_sel:[0,1,0]
	v_pk_fma_f16 v36, v172, v0, v36 op_sel_hi:[1,0,1]
	v_pk_fma_f16 v12, v172, v0, v12 op_sel:[0,1,0]
	v_pk_fma_f16 v37, v173, v0, v37 op_sel_hi:[1,0,1]
	v_pk_fma_f16 v13, v173, v0, v13 op_sel:[0,1,0]
	v_pk_fma_f16 v32, v174, v0, v32 op_sel_hi:[1,0,1]
	v_pk_fma_f16 v14, v174, v0, v14 op_sel:[0,1,0]
	v_pk_fma_f16 v38, v175, v0, v38 op_sel_hi:[1,0,1]
	v_pk_fma_f16 v15, v175, v0, v15 op_sel:[0,1,0]
	v_pk_fma_f16 v39, v176, v0, v39 op_sel_hi:[1,0,1]
	v_pk_fma_f16 v16, v176, v0, v16 op_sel:[0,1,0]
	v_pk_fma_f16 v40, v177, v0, v40 op_sel_hi:[1,0,1]
	v_pk_fma_f16 v17, v177, v0, v17 op_sel:[0,1,0]
	v_pk_fma_f16 v41, v178, v0, v41 op_sel_hi:[1,0,1]
	v_pk_fma_f16 v18, v178, v0, v18 op_sel:[0,1,0]
	v_pk_fma_f16 v42, v179, v0, v42 op_sel_hi:[1,0,1]
	v_pk_fma_f16 v0, v179, v0, v19 op_sel:[0,1,0]
	s_waitcnt lgkmcnt(0)
	s_lshl_b32 s0, s0, 7
	v_pk_fma_f16 v19, v180, v1, v36 op_sel_hi:[1,0,1]
	v_pk_fma_f16 v12, v180, v1, v12 op_sel:[0,1,0]
	v_pk_fma_f16 v36, v181, v1, v37 op_sel_hi:[1,0,1]
	v_pk_fma_f16 v13, v181, v1, v13 op_sel:[0,1,0]
	;; [unrolled: 2-line block ×8, first 2 shown]
	s_add_i32 s26, s0, s26
	v_pk_fma_f16 v1, v188, v2, v19 op_sel_hi:[1,0,1]
	v_pk_fma_f16 v12, v188, v2, v12 op_sel:[0,1,0]
	v_pk_fma_f16 v19, v189, v2, v36 op_sel_hi:[1,0,1]
	v_pk_fma_f16 v13, v189, v2, v13 op_sel:[0,1,0]
	;; [unrolled: 2-line block ×8, first 2 shown]
	v_mov_b32_e32 v30, v34
	v_mov_b32_e32 v31, v35
	s_cmp_ge_i32 s26, s34
	v_pk_fma_f16 v97, v8, v3, v1 op_sel_hi:[1,0,1]
	v_pk_fma_f16 v96, v8, v3, v12 op_sel:[0,1,0]
	v_pk_fma_f16 v32, v9, v3, v19 op_sel_hi:[1,0,1]
	v_pk_fma_f16 v12, v9, v3, v13 op_sel:[0,1,0]
	;; [unrolled: 2-line block ×8, first 2 shown]
	s_cbranch_scc0 .LBB13_9
.LBB13_10:
	v_cmp_lt_i32_e32 vcc, v67, v62
	v_cndmask_b32_e32 v0, v25, v67, vcc
	v_lshlrev_b32_e32 v1, 2, v0
	ds_bpermute_b32 v0, v1, v22
	ds_bpermute_b32 v1, v1, v23
	v_cmp_lt_i32_e32 vcc, v66, v62
	v_cndmask_b32_e32 v2, v25, v66, vcc
	v_lshlrev_b32_e32 v3, 2, v2
	v_cmp_lt_i32_e32 vcc, v65, v62
	s_waitcnt lgkmcnt(0)
	v_pk_add_f32 v[0:1], v[22:23], v[0:1]
	ds_bpermute_b32 v2, v3, v0
	ds_bpermute_b32 v3, v3, v1
	v_cndmask_b32_e32 v4, v25, v65, vcc
	v_lshlrev_b32_e32 v4, 2, v4
	v_cmp_lt_i32_e32 vcc, v64, v62
	s_cmp_lg_u64 s[24:25], 0
	s_waitcnt lgkmcnt(0)
	v_pk_add_f32 v[0:1], v[0:1], v[2:3]
	ds_bpermute_b32 v2, v4, v0
	ds_bpermute_b32 v3, v4, v1
	v_cndmask_b32_e32 v4, v25, v64, vcc
	v_lshlrev_b32_e32 v4, 2, v4
	v_cmp_lt_i32_e32 vcc, v63, v62
	s_cselect_b64 s[0:1], -1, 0
	s_waitcnt lgkmcnt(0)
	v_pk_add_f32 v[0:1], v[0:1], v[2:3]
	ds_bpermute_b32 v2, v4, v0
	ds_bpermute_b32 v3, v4, v1
	v_cndmask_b32_e32 v4, v25, v63, vcc
	v_lshlrev_b32_e32 v4, 2, v4
	s_cmp_eq_u32 s7, 0
	s_cselect_b64 s[2:3], -1, 0
	s_waitcnt lgkmcnt(0)
	v_pk_add_f32 v[0:1], v[0:1], v[2:3]
	ds_bpermute_b32 v2, v4, v0
	ds_bpermute_b32 v3, v4, v1
	s_and_b64 s[0:1], s[2:3], s[0:1]
	s_and_b64 vcc, exec, s[0:1]
	s_waitcnt lgkmcnt(0)
	v_pk_add_f32 v[0:1], v[0:1], v[2:3]
	s_cbranch_vccz .LBB13_12
; %bb.11:
	v_add_u32_e32 v2, s35, v33
	v_ashrrev_i32_e32 v3, 31, v2
	v_lshlrev_b64 v[2:3], 2, v[2:3]
	v_mov_b32_e32 v4, s25
	v_add_co_u32_e32 v2, vcc, s24, v2
	v_addc_co_u32_e32 v3, vcc, v4, v3, vcc
	global_load_dwordx2 v[2:3], v[2:3], off
	v_max_f32_e32 v4, v35, v35
	v_max_f32_e32 v6, v34, v34
	s_mov_b32 s0, 0x3fb8aa3b
	s_mov_b32 s1, 0xc2ce8ed0
	;; [unrolled: 1-line block ×3, first 2 shown]
	v_mov_b32_e32 v22, 0x7f800000
	s_waitcnt vmcnt(0)
	v_max_f32_e32 v5, v3, v3
	v_max_f32_e32 v7, v2, v2
	;; [unrolled: 1-line block ×4, first 2 shown]
	v_pk_add_f32 v[6:7], v[34:35], v[4:5] neg_lo:[0,1] neg_hi:[0,1]
	v_mul_f32_e32 v23, 0x3fb8aa3b, v7
	v_pk_add_f32 v[2:3], v[2:3], v[4:5] neg_lo:[0,1] neg_hi:[0,1]
	v_mul_f32_e32 v24, 0x3fb8aa3b, v6
	v_fma_f32 v27, v7, s0, -v23
	v_rndne_f32_e32 v28, v23
	v_mul_f32_e32 v25, 0x3fb8aa3b, v3
	v_fma_f32 v29, v6, s0, -v24
	v_rndne_f32_e32 v30, v24
	v_fmac_f32_e32 v27, 0x32a5705f, v7
	v_sub_f32_e32 v23, v23, v28
	v_mul_f32_e32 v26, 0x3fb8aa3b, v2
	v_fma_f32 v31, v3, s0, -v25
	v_rndne_f32_e32 v34, v25
	v_fmac_f32_e32 v29, 0x32a5705f, v6
	v_sub_f32_e32 v24, v24, v30
	v_add_f32_e32 v23, v23, v27
	v_fma_f32 v35, v2, s0, -v26
	v_rndne_f32_e32 v36, v26
	v_cvt_i32_f32_e32 v28, v28
	v_fmac_f32_e32 v31, 0x32a5705f, v3
	v_sub_f32_e32 v25, v25, v34
	v_add_f32_e32 v24, v24, v29
	v_exp_f32_e32 v23, v23
	v_cvt_i32_f32_e32 v30, v30
	v_fmac_f32_e32 v35, 0x32a5705f, v2
	v_sub_f32_e32 v26, v26, v36
	v_add_f32_e32 v25, v25, v31
	v_exp_f32_e32 v24, v24
	v_cvt_i32_f32_e32 v34, v34
	v_add_f32_e32 v26, v26, v35
	v_exp_f32_e32 v25, v25
	v_cvt_i32_f32_e32 v36, v36
	v_exp_f32_e32 v26, v26
	v_ldexp_f32 v23, v23, v28
	v_cmp_ngt_f32_e32 vcc, s1, v7
	v_ldexp_f32 v24, v24, v30
	v_cndmask_b32_e32 v23, 0, v23, vcc
	v_cmp_ngt_f32_e32 vcc, s1, v6
	v_ldexp_f32 v25, v25, v34
	v_cndmask_b32_e32 v24, 0, v24, vcc
	;; [unrolled: 3-line block ×3, first 2 shown]
	v_cmp_ngt_f32_e32 vcc, s1, v2
	v_cndmask_b32_e32 v26, 0, v26, vcc
	v_cmp_nlt_f32_e32 vcc, s2, v7
	v_cndmask_b32_e32 v7, v22, v23, vcc
	v_cmp_nlt_f32_e32 vcc, s2, v6
	;; [unrolled: 2-line block ×4, first 2 shown]
	v_cndmask_b32_e32 v2, v22, v26, vcc
	v_cvt_f16_f32_e32 v23, v6
	v_pk_fma_f32 v[0:1], v[0:1], v[6:7], v[2:3]
	v_cvt_f16_f32_e32 v2, v7
	v_pk_mov_b32 v[34:35], v[4:5], v[4:5] op_sel:[0,1]
	v_pk_mul_f16 v97, v23, v97 op_sel_hi:[0,1]
	v_pk_mul_f16 v32, v23, v32 op_sel_hi:[0,1]
	;; [unrolled: 1-line block ×16, first 2 shown]
.LBB13_12:
	v_cmp_gt_i32_e32 vcc, s38, v21
	s_and_saveexec_b64 s[0:1], vcc
	s_cbranch_execz .LBB13_21
; %bb.13:
	s_load_dword s6, s[4:5], 0xd4
	v_mov_b32_e32 v4, 1.0
	s_waitcnt lgkmcnt(0)
	s_cmp_lg_u32 s6, 1
	s_cselect_b64 s[0:1], -1, 0
	s_cmp_eq_u32 s6, 1
	s_cselect_b64 s[2:3], -1, 0
	s_and_b64 vcc, exec, s[0:1]
	s_cbranch_vccnz .LBB13_15
; %bb.14:
	v_div_scale_f32 v2, s[4:5], v0, v0, 1.0
	v_rcp_f32_e32 v3, v2
	v_div_scale_f32 v4, vcc, 1.0, v0, 1.0
	v_fma_f32 v5, -v2, v3, 1.0
	v_fmac_f32_e32 v3, v5, v3
	v_mul_f32_e32 v5, v4, v3
	v_fma_f32 v6, -v2, v5, v4
	v_fmac_f32_e32 v5, v6, v3
	v_fma_f32 v2, -v2, v5, v4
	v_div_fmas_f32 v2, v2, v3, v5
	v_div_fixup_f32 v4, v2, v0, 1.0
.LBB13_15:
	s_mul_i32 s33, s33, s38
	v_add_u32_e32 v2, s33, v21
	v_mul_lo_u32 v2, v2, s39
	v_add3_u32 v2, s35, v33, v2
	v_mul_lo_u32 v2, s6, v2
	v_add_u32_e32 v2, s7, v2
	v_cvt_f32_f16_sdwa v23, v97 dst_sel:DWORD dst_unused:UNUSED_PAD src0_sel:WORD_1
	v_cvt_f32_f16_e32 v22, v97
	v_cvt_f32_f16_sdwa v25, v32 dst_sel:DWORD dst_unused:UNUSED_PAD src0_sel:WORD_1
	v_cvt_f32_f16_e32 v24, v32
	v_lshl_add_u32 v6, v2, 9, v61
	v_mov_b32_e32 v7, 0
	v_cmp_eq_u32_e32 vcc, 0, v20
	v_lshlrev_b64 v[20:21], 2, v[6:7]
	s_and_b64 s[0:1], vcc, s[0:1]
	v_mov_b32_e32 v3, s29
	v_add_co_u32_e32 v26, vcc, s28, v20
	v_addc_co_u32_e32 v27, vcc, v3, v21, vcc
	v_pk_mul_f32 v[20:21], v[4:5], v[22:23] op_sel_hi:[0,1]
	v_pk_mul_f32 v[22:23], v[4:5], v[24:25] op_sel_hi:[0,1]
	global_store_dwordx4 v[26:27], v[20:23], off
	v_cvt_f32_f16_sdwa v25, v18 dst_sel:DWORD dst_unused:UNUSED_PAD src0_sel:WORD_1
	v_cvt_f32_f16_sdwa v23, v98 dst_sel:DWORD dst_unused:UNUSED_PAD src0_sel:WORD_1
	v_cvt_f32_f16_e32 v22, v98
	v_cvt_f32_f16_e32 v24, v18
	v_add_u32_e32 v20, 0x80, v6
	v_mov_b32_e32 v21, v7
	v_lshlrev_b64 v[20:21], 2, v[20:21]
	v_add_co_u32_e32 v26, vcc, s28, v20
	v_addc_co_u32_e32 v27, vcc, v3, v21, vcc
	v_pk_mul_f32 v[20:21], v[4:5], v[22:23] op_sel_hi:[0,1]
	v_pk_mul_f32 v[22:23], v[4:5], v[24:25] op_sel_hi:[0,1]
	global_store_dwordx4 v[26:27], v[20:23], off
	v_cvt_f32_f16_sdwa v25, v16 dst_sel:DWORD dst_unused:UNUSED_PAD src0_sel:WORD_1
	v_cvt_f32_f16_sdwa v23, v19 dst_sel:DWORD dst_unused:UNUSED_PAD src0_sel:WORD_1
	v_cvt_f32_f16_e32 v22, v19
	v_cvt_f32_f16_e32 v24, v16
	v_add_u32_e32 v20, 0x100, v6
	v_mov_b32_e32 v21, v7
	v_lshlrev_b64 v[20:21], 2, v[20:21]
	v_add_co_u32_e32 v26, vcc, s28, v20
	v_addc_co_u32_e32 v27, vcc, v3, v21, vcc
	v_pk_mul_f32 v[18:19], v[4:5], v[22:23] op_sel_hi:[0,1]
	v_pk_mul_f32 v[20:21], v[4:5], v[24:25] op_sel_hi:[0,1]
	global_store_dwordx4 v[26:27], v[18:21], off
	v_add_u32_e32 v6, 0x180, v6
	v_cvt_f32_f16_sdwa v19, v17 dst_sel:DWORD dst_unused:UNUSED_PAD src0_sel:WORD_1
	v_cvt_f32_f16_e32 v18, v17
	v_cvt_f32_f16_sdwa v21, v14 dst_sel:DWORD dst_unused:UNUSED_PAD src0_sel:WORD_1
	v_cvt_f32_f16_e32 v20, v14
	v_lshlrev_b64 v[6:7], 2, v[6:7]
	v_add_co_u32_e32 v6, vcc, s28, v6
	v_addc_co_u32_e32 v7, vcc, v3, v7, vcc
	v_pk_mul_f32 v[16:17], v[4:5], v[18:19] op_sel_hi:[0,1]
	v_pk_mul_f32 v[18:19], v[4:5], v[20:21] op_sel_hi:[0,1]
	global_store_dwordx4 v[6:7], v[16:19], off
	s_and_saveexec_b64 s[4:5], s[0:1]
	s_cbranch_execz .LBB13_17
; %bb.16:
	v_ashrrev_i32_e32 v3, 31, v2
	v_lshlrev_b64 v[4:5], 3, v[2:3]
	v_mov_b32_e32 v3, s31
	v_add_co_u32_e32 v4, vcc, s30, v4
	v_addc_co_u32_e32 v5, vcc, v3, v5, vcc
	v_mov_b32_e32 v6, v34
	v_mov_b32_e32 v7, v0
	global_store_dwordx2 v[4:5], v[6:7], off
.LBB13_17:
	s_or_b64 exec, exec, s[4:5]
	s_andn2_b64 vcc, exec, s[2:3]
	v_mov_b32_e32 v0, 1.0
	s_cbranch_vccnz .LBB13_19
; %bb.18:
	v_div_scale_f32 v0, s[2:3], v1, v1, 1.0
	v_rcp_f32_e32 v3, v0
	v_div_scale_f32 v4, vcc, 1.0, v1, 1.0
	v_fma_f32 v5, -v0, v3, 1.0
	v_fmac_f32_e32 v3, v5, v3
	v_mul_f32_e32 v5, v4, v3
	v_fma_f32 v6, -v0, v5, v4
	v_fmac_f32_e32 v5, v6, v3
	v_fma_f32 v0, -v0, v5, v4
	v_div_fmas_f32 v0, v0, v3, v5
	v_div_fixup_f32 v0, v0, v1, 1.0
.LBB13_19:
	v_add_u32_e32 v2, s6, v2
	v_cvt_f32_f16_sdwa v7, v96 dst_sel:DWORD dst_unused:UNUSED_PAD src0_sel:WORD_1
	v_cvt_f32_f16_e32 v6, v96
	v_cvt_f32_f16_sdwa v19, v12 dst_sel:DWORD dst_unused:UNUSED_PAD src0_sel:WORD_1
	v_cvt_f32_f16_e32 v18, v12
	v_lshl_add_u32 v16, v2, 9, v61
	v_mov_b32_e32 v17, 0
	v_lshlrev_b64 v[4:5], 2, v[16:17]
	v_mov_b32_e32 v3, s29
	v_add_co_u32_e32 v20, vcc, s28, v4
	v_addc_co_u32_e32 v21, vcc, v3, v5, vcc
	v_pk_mul_f32 v[4:5], v[0:1], v[6:7] op_sel_hi:[0,1]
	v_pk_mul_f32 v[6:7], v[0:1], v[18:19] op_sel_hi:[0,1]
	global_store_dwordx4 v[20:21], v[4:7], off
	v_cvt_f32_f16_e32 v14, v10
	v_cvt_f32_f16_sdwa v7, v15 dst_sel:DWORD dst_unused:UNUSED_PAD src0_sel:WORD_1
	v_cvt_f32_f16_e32 v6, v15
	v_cvt_f32_f16_sdwa v15, v10 dst_sel:DWORD dst_unused:UNUSED_PAD src0_sel:WORD_1
	v_add_u32_e32 v4, 0x80, v16
	v_mov_b32_e32 v5, v17
	v_lshlrev_b64 v[4:5], 2, v[4:5]
	v_add_co_u32_e32 v18, vcc, s28, v4
	v_addc_co_u32_e32 v19, vcc, v3, v5, vcc
	v_pk_mul_f32 v[4:5], v[0:1], v[6:7] op_sel_hi:[0,1]
	v_pk_mul_f32 v[6:7], v[0:1], v[14:15] op_sel_hi:[0,1]
	global_store_dwordx4 v[18:19], v[4:7], off
	v_cvt_f32_f16_e32 v12, v8
	v_cvt_f32_f16_sdwa v7, v13 dst_sel:DWORD dst_unused:UNUSED_PAD src0_sel:WORD_1
	v_cvt_f32_f16_e32 v6, v13
	v_cvt_f32_f16_sdwa v13, v8 dst_sel:DWORD dst_unused:UNUSED_PAD src0_sel:WORD_1
	v_add_u32_e32 v4, 0x100, v16
	v_mov_b32_e32 v5, v17
	v_lshlrev_b64 v[4:5], 2, v[4:5]
	v_add_co_u32_e32 v14, vcc, s28, v4
	v_addc_co_u32_e32 v15, vcc, v3, v5, vcc
	v_pk_mul_f32 v[4:5], v[0:1], v[6:7] op_sel_hi:[0,1]
	v_pk_mul_f32 v[6:7], v[0:1], v[12:13] op_sel_hi:[0,1]
	global_store_dwordx4 v[14:15], v[4:7], off
	v_cvt_f32_f16_e32 v10, v9
	v_cvt_f32_f16_sdwa v7, v11 dst_sel:DWORD dst_unused:UNUSED_PAD src0_sel:WORD_1
	v_cvt_f32_f16_e32 v6, v11
	v_cvt_f32_f16_sdwa v11, v9 dst_sel:DWORD dst_unused:UNUSED_PAD src0_sel:WORD_1
	v_add_u32_e32 v16, 0x180, v16
	v_lshlrev_b64 v[4:5], 2, v[16:17]
	v_add_co_u32_e32 v8, vcc, s28, v4
	v_addc_co_u32_e32 v9, vcc, v3, v5, vcc
	v_pk_mul_f32 v[4:5], v[0:1], v[6:7] op_sel_hi:[0,1]
	v_pk_mul_f32 v[6:7], v[0:1], v[10:11] op_sel_hi:[0,1]
	global_store_dwordx4 v[8:9], v[4:7], off
	s_and_b64 exec, exec, s[0:1]
	s_cbranch_execz .LBB13_21
; %bb.20:
	v_ashrrev_i32_e32 v3, 31, v2
	v_lshlrev_b64 v[2:3], 3, v[2:3]
	v_mov_b32_e32 v0, s31
	v_add_co_u32_e32 v2, vcc, s30, v2
	v_addc_co_u32_e32 v3, vcc, v0, v3, vcc
	v_mov_b32_e32 v0, v35
	global_store_dwordx2 v[2:3], v[0:1], off
.LBB13_21:
	s_endpgm
	.section	.rodata,"a",@progbits
	.p2align	6, 0x0
	.amdhsa_kernel _ZL15flash_attn_tileILi512ELi512ELi8ELi4ELb0EEvPKcS1_S1_S1_S1_PKiPfP15HIP_vector_typeIfLj2EEffffjfiS5_IjLj3EEiiiiiiiiiiiliiliiiiil
		.amdhsa_group_segment_fixed_size 59392
		.amdhsa_private_segment_fixed_size 0
		.amdhsa_kernarg_size 464
		.amdhsa_user_sgpr_count 6
		.amdhsa_user_sgpr_private_segment_buffer 1
		.amdhsa_user_sgpr_dispatch_ptr 0
		.amdhsa_user_sgpr_queue_ptr 0
		.amdhsa_user_sgpr_kernarg_segment_ptr 1
		.amdhsa_user_sgpr_dispatch_id 0
		.amdhsa_user_sgpr_flat_scratch_init 0
		.amdhsa_user_sgpr_kernarg_preload_length 0
		.amdhsa_user_sgpr_kernarg_preload_offset 0
		.amdhsa_user_sgpr_private_segment_size 0
		.amdhsa_uses_dynamic_stack 0
		.amdhsa_system_sgpr_private_segment_wavefront_offset 0
		.amdhsa_system_sgpr_workgroup_id_x 1
		.amdhsa_system_sgpr_workgroup_id_y 1
		.amdhsa_system_sgpr_workgroup_id_z 1
		.amdhsa_system_sgpr_workgroup_info 0
		.amdhsa_system_vgpr_workitem_id 1
		.amdhsa_next_free_vgpr 234
		.amdhsa_next_free_sgpr 46
		.amdhsa_accum_offset 236
		.amdhsa_reserve_vcc 1
		.amdhsa_reserve_flat_scratch 0
		.amdhsa_float_round_mode_32 0
		.amdhsa_float_round_mode_16_64 0
		.amdhsa_float_denorm_mode_32 3
		.amdhsa_float_denorm_mode_16_64 3
		.amdhsa_dx10_clamp 1
		.amdhsa_ieee_mode 1
		.amdhsa_fp16_overflow 0
		.amdhsa_tg_split 0
		.amdhsa_exception_fp_ieee_invalid_op 0
		.amdhsa_exception_fp_denorm_src 0
		.amdhsa_exception_fp_ieee_div_zero 0
		.amdhsa_exception_fp_ieee_overflow 0
		.amdhsa_exception_fp_ieee_underflow 0
		.amdhsa_exception_fp_ieee_inexact 0
		.amdhsa_exception_int_div_zero 0
	.end_amdhsa_kernel
	.section	.text._ZL15flash_attn_tileILi512ELi512ELi8ELi4ELb0EEvPKcS1_S1_S1_S1_PKiPfP15HIP_vector_typeIfLj2EEffffjfiS5_IjLj3EEiiiiiiiiiiiliiliiiiil,"axG",@progbits,_ZL15flash_attn_tileILi512ELi512ELi8ELi4ELb0EEvPKcS1_S1_S1_S1_PKiPfP15HIP_vector_typeIfLj2EEffffjfiS5_IjLj3EEiiiiiiiiiiiliiliiiiil,comdat
.Lfunc_end13:
	.size	_ZL15flash_attn_tileILi512ELi512ELi8ELi4ELb0EEvPKcS1_S1_S1_S1_PKiPfP15HIP_vector_typeIfLj2EEffffjfiS5_IjLj3EEiiiiiiiiiiiliiliiiiil, .Lfunc_end13-_ZL15flash_attn_tileILi512ELi512ELi8ELi4ELb0EEvPKcS1_S1_S1_S1_PKiPfP15HIP_vector_typeIfLj2EEffffjfiS5_IjLj3EEiiiiiiiiiiiliiliiiiil
                                        ; -- End function
	.section	.AMDGPU.csdata,"",@progbits
; Kernel info:
; codeLenInByte = 45544
; NumSgprs: 50
; NumVgprs: 234
; NumAgprs: 0
; TotalNumVgprs: 234
; ScratchSize: 0
; MemoryBound: 0
; FloatMode: 240
; IeeeMode: 1
; LDSByteSize: 59392 bytes/workgroup (compile time only)
; SGPRBlocks: 6
; VGPRBlocks: 29
; NumSGPRsForWavesPerEU: 50
; NumVGPRsForWavesPerEU: 234
; AccumOffset: 236
; Occupancy: 2
; WaveLimiterHint : 1
; COMPUTE_PGM_RSRC2:SCRATCH_EN: 0
; COMPUTE_PGM_RSRC2:USER_SGPR: 6
; COMPUTE_PGM_RSRC2:TRAP_HANDLER: 0
; COMPUTE_PGM_RSRC2:TGID_X_EN: 1
; COMPUTE_PGM_RSRC2:TGID_Y_EN: 1
; COMPUTE_PGM_RSRC2:TGID_Z_EN: 1
; COMPUTE_PGM_RSRC2:TIDIG_COMP_CNT: 1
; COMPUTE_PGM_RSRC3_GFX90A:ACCUM_OFFSET: 58
; COMPUTE_PGM_RSRC3_GFX90A:TG_SPLIT: 0
	.section	.text._ZL25flash_attn_mask_to_KV_maxILi8EEvPK7__half2Piiii,"axG",@progbits,_ZL25flash_attn_mask_to_KV_maxILi8EEvPK7__half2Piiii,comdat
	.globl	_ZL25flash_attn_mask_to_KV_maxILi8EEvPK7__half2Piiii ; -- Begin function _ZL25flash_attn_mask_to_KV_maxILi8EEvPK7__half2Piiii
	.p2align	8
	.type	_ZL25flash_attn_mask_to_KV_maxILi8EEvPK7__half2Piiii,@function
_ZL25flash_attn_mask_to_KV_maxILi8EEvPK7__half2Piiii: ; @_ZL25flash_attn_mask_to_KV_maxILi8EEvPK7__half2Piiii
; %bb.0:
	s_load_dwordx4 s[8:11], s[4:5], 0x0
	v_cmp_gt_u32_e32 vcc, 32, v0
	s_and_saveexec_b64 s[0:1], vcc
	s_cbranch_execz .LBB14_2
; %bb.1:
	v_lshlrev_b32_e32 v1, 2, v0
	v_mov_b32_e32 v2, 1
	ds_write_b32 v1, v2
.LBB14_2:
	s_or_b64 exec, exec, s[0:1]
	s_load_dwordx4 s[12:15], s[4:5], 0x10
	s_load_dword s33, s[4:5], 0x20
	v_and_b32_e32 v2, 31, v0
	v_lshlrev_b32_e32 v6, 2, v2
	v_lshrrev_b32_e32 v1, 3, v0
	s_waitcnt lgkmcnt(0)
	s_mul_i32 s1, s6, s13
	s_mul_i32 s0, s7, s14
	s_lshl_b32 s1, s1, 3
	s_add_i32 s0, s0, s1
	s_ashr_i32 s1, s0, 31
	s_lshl_b64 s[0:1], s[0:1], 2
	s_add_u32 s42, s8, s0
	s_addc_u32 s43, s9, s1
	v_cmp_eq_u32_e64 s[0:1], 0, v2
	v_mbcnt_lo_u32_b32 v2, -1, 0
	v_mbcnt_hi_u32_b32 v7, -1, v2
	v_and_b32_e32 v2, 0x60, v7
	s_lshl_b32 s12, s12, 8
	s_mov_b64 s[4:5], 0
	v_mov_b32_e32 v3, 0
	s_movk_i32 s44, 0x204
	s_movk_i32 s45, 0x7fff
	;; [unrolled: 1-line block ×3, first 2 shown]
	v_add_u32_e32 v8, 32, v2
	v_xor_b32_e32 v9, 16, v7
	s_barrier
	s_waitcnt lgkmcnt(0)
                                        ; implicit-def: $sgpr2_sgpr3
	s_branch .LBB14_5
.LBB14_3:                               ;   in Loop: Header=BB14_5 Depth=1
	s_or_b64 exec, exec, s[8:9]
	s_waitcnt lgkmcnt(0)
	s_barrier
	ds_read_b32 v12, v6
	s_waitcnt lgkmcnt(0)
	s_barrier
	ds_bpermute_b32 v2, v2, v12
	v_cmp_ne_u32_e32 vcc, 0, v12
	s_waitcnt lgkmcnt(0)
	v_cmp_ne_u32_e64 s[2:3], 0, v2
	s_and_b64 s[2:3], vcc, s[2:3]
	v_cndmask_b32_e64 v2, 0, 1, s[2:3]
	ds_bpermute_b32 v2, v4, v2
	s_waitcnt lgkmcnt(0)
	v_cmp_ne_u32_e32 vcc, 0, v2
	s_and_b64 s[2:3], vcc, s[2:3]
	v_cndmask_b32_e64 v2, 0, 1, s[2:3]
	ds_bpermute_b32 v2, v5, v2
	s_waitcnt lgkmcnt(0)
	v_cmp_ne_u32_e32 vcc, 0, v2
	;; [unrolled: 5-line block ×3, first 2 shown]
	s_and_b64 s[2:3], vcc, s[2:3]
	v_cndmask_b32_e64 v2, 0, 1, s[2:3]
	ds_bpermute_b32 v2, v11, v2
	s_xor_b64 s[2:3], s[2:3], -1
	s_waitcnt lgkmcnt(0)
	v_cmp_eq_u32_e32 vcc, 0, v2
	s_or_b64 s[2:3], vcc, s[2:3]
.LBB14_4:                               ;   in Loop: Header=BB14_5 Depth=1
	s_and_b64 s[8:9], exec, s[2:3]
	s_or_b64 s[4:5], s[8:9], s[4:5]
	v_mov_b32_e32 v2, s12
	s_mov_b32 s12, s47
	s_andn2_b64 exec, exec, s[4:5]
	s_cbranch_execz .LBB14_36
.LBB14_5:                               ; =>This Inner Loop Header: Depth=1
	s_add_i32 s47, s12, 0xffffff00
	s_or_b64 s[2:3], s[2:3], exec
	s_cmp_lt_i32 s47, 0
	s_cbranch_scc1 .LBB14_4
; %bb.6:                                ;   in Loop: Header=BB14_5 Depth=1
	s_lshr_b32 s2, s47, 1
	v_add_u32_e32 v2, s2, v0
	v_lshlrev_b64 v[4:5], 2, v[2:3]
	v_mov_b32_e32 v10, s43
	v_add_co_u32_e32 v4, vcc, s42, v4
	v_addc_co_u32_e32 v5, vcc, v10, v5, vcc
	global_load_dword v4, v[4:5], off
	s_mov_b64 s[8:9], 0
	s_waitcnt vmcnt(0)
	v_cmp_class_f16_e64 s[2:3], v4, s44
	v_and_b32_sdwa v4, s45, v4 dst_sel:DWORD dst_unused:UNUSED_PAD src0_sel:DWORD src1_sel:WORD_1
	v_cmp_eq_f16_e32 vcc, s46, v4
	s_and_b64 s[14:15], s[2:3], vcc
	s_and_saveexec_b64 s[2:3], s[14:15]
	s_cbranch_execz .LBB14_34
; %bb.7:                                ;   in Loop: Header=BB14_5 Depth=1
	v_add_u32_e32 v4, s13, v2
	v_ashrrev_i32_e32 v5, 31, v4
	v_lshlrev_b64 v[10:11], 2, v[4:5]
	v_mov_b32_e32 v2, s43
	v_add_co_u32_e32 v10, vcc, s42, v10
	v_addc_co_u32_e32 v11, vcc, v2, v11, vcc
	global_load_dword v2, v[10:11], off
	s_mov_b64 s[14:15], 0
	s_waitcnt vmcnt(0)
	v_cmp_class_f16_e64 s[16:17], v2, s44
	s_and_saveexec_b64 s[8:9], s[16:17]
	s_cbranch_execz .LBB14_33
; %bb.8:                                ;   in Loop: Header=BB14_5 Depth=1
	v_cmp_class_f16_sdwa s[18:19], v2, s44 src0_sel:WORD_1 src1_sel:DWORD
	s_mov_b64 s[16:17], 0
	s_and_saveexec_b64 s[14:15], s[18:19]
	s_cbranch_execz .LBB14_32
; %bb.9:                                ;   in Loop: Header=BB14_5 Depth=1
	v_add_u32_e32 v4, s13, v4
	v_ashrrev_i32_e32 v5, 31, v4
	v_lshlrev_b64 v[10:11], 2, v[4:5]
	v_mov_b32_e32 v2, s43
	v_add_co_u32_e32 v10, vcc, s42, v10
	v_addc_co_u32_e32 v11, vcc, v2, v11, vcc
	global_load_dword v2, v[10:11], off
	s_mov_b64 s[18:19], 0
	s_waitcnt vmcnt(0)
	v_cmp_class_f16_e64 s[20:21], v2, s44
	s_and_saveexec_b64 s[16:17], s[20:21]
	s_cbranch_execz .LBB14_31
; %bb.10:                               ;   in Loop: Header=BB14_5 Depth=1
	v_cmp_class_f16_sdwa s[22:23], v2, s44 src0_sel:WORD_1 src1_sel:DWORD
	s_mov_b64 s[20:21], 0
	s_and_saveexec_b64 s[18:19], s[22:23]
	s_cbranch_execz .LBB14_30
; %bb.11:                               ;   in Loop: Header=BB14_5 Depth=1
	v_add_u32_e32 v4, s13, v4
	v_ashrrev_i32_e32 v5, 31, v4
	v_lshlrev_b64 v[10:11], 2, v[4:5]
	v_mov_b32_e32 v2, s43
	v_add_co_u32_e32 v10, vcc, s42, v10
	v_addc_co_u32_e32 v11, vcc, v2, v11, vcc
	global_load_dword v2, v[10:11], off
	s_mov_b64 s[22:23], 0
	s_waitcnt vmcnt(0)
	v_cmp_class_f16_e64 s[24:25], v2, s44
	s_and_saveexec_b64 s[20:21], s[24:25]
	s_cbranch_execz .LBB14_29
; %bb.12:                               ;   in Loop: Header=BB14_5 Depth=1
	v_cmp_class_f16_sdwa s[26:27], v2, s44 src0_sel:WORD_1 src1_sel:DWORD
	s_mov_b64 s[24:25], 0
	s_and_saveexec_b64 s[22:23], s[26:27]
	s_cbranch_execz .LBB14_28
; %bb.13:                               ;   in Loop: Header=BB14_5 Depth=1
	;; [unrolled: 18-line block ×5, first 2 shown]
	v_add_u32_e32 v4, s13, v4
	v_ashrrev_i32_e32 v5, 31, v4
	v_lshlrev_b64 v[4:5], 2, v[4:5]
	v_mov_b32_e32 v2, s43
	v_add_co_u32_e32 v4, vcc, s42, v4
	v_addc_co_u32_e32 v5, vcc, v2, v5, vcc
	global_load_dword v2, v[4:5], off
	s_waitcnt vmcnt(0)
	v_cmp_class_f16_e64 s[48:49], v2, s44
	s_and_saveexec_b64 s[40:41], s[48:49]
; %bb.20:                               ;   in Loop: Header=BB14_5 Depth=1
	v_cmp_class_f16_sdwa s[38:39], v2, s44 src0_sel:WORD_1 src1_sel:DWORD
	s_and_b64 s[38:39], s[38:39], exec
; %bb.21:                               ;   in Loop: Header=BB14_5 Depth=1
	s_or_b64 exec, exec, s[40:41]
	s_and_b64 s[38:39], s[38:39], exec
.LBB14_22:                              ;   in Loop: Header=BB14_5 Depth=1
	s_or_b64 exec, exec, s[36:37]
	s_and_b64 s[36:37], s[38:39], exec
.LBB14_23:                              ;   in Loop: Header=BB14_5 Depth=1
	s_or_b64 exec, exec, s[34:35]
	s_and_b64 s[34:35], s[36:37], exec
.LBB14_24:                              ;   in Loop: Header=BB14_5 Depth=1
	s_or_b64 exec, exec, s[30:31]
	s_and_b64 s[30:31], s[34:35], exec
.LBB14_25:                              ;   in Loop: Header=BB14_5 Depth=1
	s_or_b64 exec, exec, s[28:29]
	s_and_b64 s[28:29], s[30:31], exec
.LBB14_26:                              ;   in Loop: Header=BB14_5 Depth=1
	s_or_b64 exec, exec, s[26:27]
	s_and_b64 s[26:27], s[28:29], exec
.LBB14_27:                              ;   in Loop: Header=BB14_5 Depth=1
	s_or_b64 exec, exec, s[24:25]
	s_and_b64 s[24:25], s[26:27], exec
.LBB14_28:                              ;   in Loop: Header=BB14_5 Depth=1
	s_or_b64 exec, exec, s[22:23]
	s_and_b64 s[22:23], s[24:25], exec
.LBB14_29:                              ;   in Loop: Header=BB14_5 Depth=1
	s_or_b64 exec, exec, s[20:21]
	s_and_b64 s[20:21], s[22:23], exec
.LBB14_30:                              ;   in Loop: Header=BB14_5 Depth=1
	s_or_b64 exec, exec, s[18:19]
	s_and_b64 s[18:19], s[20:21], exec
.LBB14_31:                              ;   in Loop: Header=BB14_5 Depth=1
	s_or_b64 exec, exec, s[16:17]
	s_and_b64 s[16:17], s[18:19], exec
.LBB14_32:                              ;   in Loop: Header=BB14_5 Depth=1
	s_or_b64 exec, exec, s[14:15]
	s_and_b64 s[14:15], s[16:17], exec
.LBB14_33:                              ;   in Loop: Header=BB14_5 Depth=1
	s_or_b64 exec, exec, s[8:9]
	s_and_b64 s[8:9], s[14:15], exec
.LBB14_34:                              ;   in Loop: Header=BB14_5 Depth=1
	s_or_b64 exec, exec, s[2:3]
	v_cmp_lt_i32_e32 vcc, v9, v8
	v_cndmask_b32_e32 v2, v7, v9, vcc
	v_cndmask_b32_e64 v4, 0, 1, s[8:9]
	v_lshlrev_b32_e32 v2, 2, v2
	ds_bpermute_b32 v4, v2, v4
	v_xor_b32_e32 v5, 8, v7
	s_waitcnt lgkmcnt(0)
	v_cmp_ne_u32_e32 vcc, 0, v4
	s_and_b64 s[2:3], s[8:9], vcc
	v_cmp_lt_i32_e32 vcc, v5, v8
	v_cndmask_b32_e32 v4, v7, v5, vcc
	v_cndmask_b32_e64 v10, 0, 1, s[2:3]
	v_lshlrev_b32_e32 v4, 2, v4
	ds_bpermute_b32 v5, v4, v10
	s_waitcnt lgkmcnt(0)
	v_cmp_ne_u32_e32 vcc, 0, v5
	v_xor_b32_e32 v5, 4, v7
	s_and_b64 s[2:3], vcc, s[2:3]
	v_cmp_lt_i32_e32 vcc, v5, v8
	v_cndmask_b32_e32 v5, v7, v5, vcc
	v_cndmask_b32_e64 v10, 0, 1, s[2:3]
	v_lshlrev_b32_e32 v5, 2, v5
	ds_bpermute_b32 v10, v5, v10
	s_waitcnt lgkmcnt(0)
	v_cmp_ne_u32_e32 vcc, 0, v10
	v_xor_b32_e32 v10, 2, v7
	s_and_b64 s[2:3], vcc, s[2:3]
	;; [unrolled: 9-line block ×3, first 2 shown]
	v_cmp_lt_i32_e32 vcc, v11, v8
	v_cndmask_b32_e32 v11, v7, v11, vcc
	v_cndmask_b32_e64 v12, 0, 1, s[2:3]
	v_lshlrev_b32_e32 v11, 2, v11
	ds_bpermute_b32 v12, v11, v12
	s_and_saveexec_b64 s[8:9], s[0:1]
	s_cbranch_execz .LBB14_3
; %bb.35:                               ;   in Loop: Header=BB14_5 Depth=1
	s_waitcnt lgkmcnt(0)
	v_cmp_ne_u32_e32 vcc, 0, v12
	s_and_b64 s[2:3], vcc, s[2:3]
	v_cndmask_b32_e64 v12, 0, 1, s[2:3]
	ds_write_b32 v1, v12
	s_branch .LBB14_3
.LBB14_36:
	s_or_b64 exec, exec, s[4:5]
	v_cmp_eq_u32_e32 vcc, 0, v0
	s_and_saveexec_b64 s[0:1], vcc
	s_cbranch_execz .LBB14_38
; %bb.37:
	s_mul_i32 s0, s33, s7
	s_add_i32 s0, s0, s6
	s_ashr_i32 s1, s0, 31
	s_lshl_b64 s[0:1], s[0:1], 2
	s_add_u32 s0, s10, s0
	s_addc_u32 s1, s11, s1
	v_mov_b32_e32 v0, 0
	global_store_dword v0, v2, s[0:1]
.LBB14_38:
	s_endpgm
	.section	.rodata,"a",@progbits
	.p2align	6, 0x0
	.amdhsa_kernel _ZL25flash_attn_mask_to_KV_maxILi8EEvPK7__half2Piiii
		.amdhsa_group_segment_fixed_size 128
		.amdhsa_private_segment_fixed_size 0
		.amdhsa_kernarg_size 288
		.amdhsa_user_sgpr_count 6
		.amdhsa_user_sgpr_private_segment_buffer 1
		.amdhsa_user_sgpr_dispatch_ptr 0
		.amdhsa_user_sgpr_queue_ptr 0
		.amdhsa_user_sgpr_kernarg_segment_ptr 1
		.amdhsa_user_sgpr_dispatch_id 0
		.amdhsa_user_sgpr_flat_scratch_init 0
		.amdhsa_user_sgpr_kernarg_preload_length 0
		.amdhsa_user_sgpr_kernarg_preload_offset 0
		.amdhsa_user_sgpr_private_segment_size 0
		.amdhsa_uses_dynamic_stack 0
		.amdhsa_system_sgpr_private_segment_wavefront_offset 0
		.amdhsa_system_sgpr_workgroup_id_x 1
		.amdhsa_system_sgpr_workgroup_id_y 1
		.amdhsa_system_sgpr_workgroup_id_z 0
		.amdhsa_system_sgpr_workgroup_info 0
		.amdhsa_system_vgpr_workitem_id 0
		.amdhsa_next_free_vgpr 13
		.amdhsa_next_free_sgpr 50
		.amdhsa_accum_offset 16
		.amdhsa_reserve_vcc 1
		.amdhsa_reserve_flat_scratch 0
		.amdhsa_float_round_mode_32 0
		.amdhsa_float_round_mode_16_64 0
		.amdhsa_float_denorm_mode_32 3
		.amdhsa_float_denorm_mode_16_64 3
		.amdhsa_dx10_clamp 1
		.amdhsa_ieee_mode 1
		.amdhsa_fp16_overflow 0
		.amdhsa_tg_split 0
		.amdhsa_exception_fp_ieee_invalid_op 0
		.amdhsa_exception_fp_denorm_src 0
		.amdhsa_exception_fp_ieee_div_zero 0
		.amdhsa_exception_fp_ieee_overflow 0
		.amdhsa_exception_fp_ieee_underflow 0
		.amdhsa_exception_fp_ieee_inexact 0
		.amdhsa_exception_int_div_zero 0
	.end_amdhsa_kernel
	.section	.text._ZL25flash_attn_mask_to_KV_maxILi8EEvPK7__half2Piiii,"axG",@progbits,_ZL25flash_attn_mask_to_KV_maxILi8EEvPK7__half2Piiii,comdat
.Lfunc_end14:
	.size	_ZL25flash_attn_mask_to_KV_maxILi8EEvPK7__half2Piiii, .Lfunc_end14-_ZL25flash_attn_mask_to_KV_maxILi8EEvPK7__half2Piiii
                                        ; -- End function
	.section	.AMDGPU.csdata,"",@progbits
; Kernel info:
; codeLenInByte = 1424
; NumSgprs: 54
; NumVgprs: 13
; NumAgprs: 0
; TotalNumVgprs: 13
; ScratchSize: 0
; MemoryBound: 0
; FloatMode: 240
; IeeeMode: 1
; LDSByteSize: 128 bytes/workgroup (compile time only)
; SGPRBlocks: 6
; VGPRBlocks: 1
; NumSGPRsForWavesPerEU: 54
; NumVGPRsForWavesPerEU: 13
; AccumOffset: 16
; Occupancy: 8
; WaveLimiterHint : 0
; COMPUTE_PGM_RSRC2:SCRATCH_EN: 0
; COMPUTE_PGM_RSRC2:USER_SGPR: 6
; COMPUTE_PGM_RSRC2:TRAP_HANDLER: 0
; COMPUTE_PGM_RSRC2:TGID_X_EN: 1
; COMPUTE_PGM_RSRC2:TGID_Y_EN: 1
; COMPUTE_PGM_RSRC2:TGID_Z_EN: 0
; COMPUTE_PGM_RSRC2:TIDIG_COMP_CNT: 0
; COMPUTE_PGM_RSRC3_GFX90A:ACCUM_OFFSET: 3
; COMPUTE_PGM_RSRC3_GFX90A:TG_SPLIT: 0
	.section	.text._ZL33flash_attn_stream_k_fixup_uniformILi512ELi8ELi4EEvPfPK15HIP_vector_typeIfLj2EEiiiiiiS1_IjLj3EES5_S5_,"axG",@progbits,_ZL33flash_attn_stream_k_fixup_uniformILi512ELi8ELi4EEvPfPK15HIP_vector_typeIfLj2EEiiiiiiS1_IjLj3EES5_S5_,comdat
	.globl	_ZL33flash_attn_stream_k_fixup_uniformILi512ELi8ELi4EEvPfPK15HIP_vector_typeIfLj2EEiiiiiiS1_IjLj3EES5_S5_ ; -- Begin function _ZL33flash_attn_stream_k_fixup_uniformILi512ELi8ELi4EEvPfPK15HIP_vector_typeIfLj2EEiiiiiiS1_IjLj3EES5_S5_
	.p2align	8
	.type	_ZL33flash_attn_stream_k_fixup_uniformILi512ELi8ELi4EEvPfPK15HIP_vector_typeIfLj2EEiiiiiiS1_IjLj3EES5_S5_,@function
_ZL33flash_attn_stream_k_fixup_uniformILi512ELi8ELi4EEvPfPK15HIP_vector_typeIfLj2EEiiiiiiS1_IjLj3EES5_S5_: ; @_ZL33flash_attn_stream_k_fixup_uniformILi512ELi8ELi4EEvPfPK15HIP_vector_typeIfLj2EEiiiiiiS1_IjLj3EES5_S5_
; %bb.0:
	s_load_dwordx8 s[12:19], s[4:5], 0x1c
	s_load_dwordx2 s[10:11], s[4:5], 0x10
	s_load_dwordx4 s[0:3], s[4:5], 0x3c
	s_waitcnt lgkmcnt(0)
	s_mul_hi_u32 s9, s15, s6
	s_add_i32 s9, s6, s9
	s_lshr_b32 s9, s9, s16
	s_mul_i32 s15, s9, s17
	s_sub_i32 s15, s6, s15
	s_mul_hi_u32 s16, s15, s18
	s_add_i32 s16, s15, s16
	s_lshr_b32 s16, s16, s19
	s_mul_i32 s0, s16, s0
	s_sub_i32 s0, s15, s0
	;; [unrolled: 5-line block ×3, first 2 shown]
	s_lshl_b32 s0, s17, 3
	s_lshl_b32 s15, s1, 2
	s_add_i32 s0, s0, s7
	s_cmp_lt_i32 s0, s10
	s_cselect_b64 s[0:1], -1, 0
	s_add_i32 s2, s15, s8
	s_cmp_lt_i32 s2, s13
	s_cselect_b64 s[2:3], -1, 0
	s_and_b64 s[0:1], s[0:1], s[2:3]
	s_andn2_b64 vcc, exec, s[0:1]
	s_cbranch_vccnz .LBB15_6
; %bb.1:
	s_load_dwordx4 s[0:3], s[4:5], 0x0
	s_mul_i32 s4, s9, s10
	s_add_i32 s4, s4, s7
	s_mul_i32 s4, s4, s11
	s_mul_i32 s16, s16, s13
	s_add_i32 s4, s4, s8
	s_add_i32 s4, s4, s16
	s_mul_i32 s5, s11, s17
	s_add_i32 s4, s4, s15
	s_lshl_b32 s5, s5, 12
	s_lshl_b32 s4, s4, 9
	s_add_i32 s5, s5, s4
	v_or_b32_e32 v2, s5, v0
	v_ashrrev_i32_e32 v3, 31, v2
	v_lshlrev_b64 v[2:3], 2, v[2:3]
	s_waitcnt lgkmcnt(0)
	v_mov_b32_e32 v1, s1
	v_add_co_u32_e32 v2, vcc, s0, v2
	v_addc_co_u32_e32 v3, vcc, v1, v3, vcc
	global_load_dword v8, v[2:3], off
	s_mul_i32 s9, s6, s14
	s_lshl_b32 s4, s7, 2
	s_add_i32 s11, s9, s14
	s_add_i32 s0, s4, s8
	s_lshl_b32 s1, s11, 5
	s_add_i32 s0, s0, s1
	s_sub_i32 s0, s0, 32
	s_ashr_i32 s1, s0, 31
	s_lshl_b64 s[0:1], s[0:1], 3
	s_add_u32 s0, s2, s0
	s_addc_u32 s1, s3, s1
	s_load_dword s5, s[0:1], 0x4
	s_add_i32 s10, s11, -2
	s_cmp_lt_i32 s10, s9
	s_cbranch_scc1 .LBB15_4
; %bb.2:
	s_lshl_b32 s16, s12, 7
	s_ashr_i32 s17, s16, 31
	s_lshl_b64 s[16:17], s[16:17], 2
	s_add_u32 s10, s2, s16
	s_addc_u32 s13, s3, s17
	s_add_i32 s6, s6, 1
	s_load_dword s0, s[0:1], 0x0
	s_mul_i32 s1, s14, s6
	s_lshl_b32 s7, s7, 11
	s_lshl_b32 s14, s8, 9
	;; [unrolled: 1-line block ×3, first 2 shown]
	s_add_i32 s7, s14, s7
	s_lshl_b32 s1, s1, 5
	s_add_i32 s7, s7, s6
	s_add_i32 s1, s8, s1
	s_lshl_b32 s6, s12, 5
	s_add_i32 s1, s1, s6
	v_or_b32_e32 v0, s7, v0
	s_add_i32 s1, s1, s4
	s_add_i32 s11, s11, -1
	v_add_u32_e32 v0, 0xffff8000, v0
	s_sub_i32 s4, s1, 64
	s_waitcnt lgkmcnt(0)
	v_mov_b32_e32 v7, s5
	v_mov_b32_e32 v6, s0
	;; [unrolled: 1-line block ×3, first 2 shown]
	s_mov_b32 s6, 0x3fb8aa3b
	s_mov_b32 s7, 0xc2ce8ed0
	;; [unrolled: 1-line block ×3, first 2 shown]
	v_mov_b32_e32 v5, 0x7f800000
	s_mov_b32 s12, 0xc1a00000
.LBB15_3:                               ; =>This Inner Loop Header: Depth=1
	v_ashrrev_i32_e32 v1, 31, v0
	v_lshlrev_b64 v[10:11], 2, v[0:1]
	v_add_co_u32_e32 v10, vcc, s10, v10
	v_addc_co_u32_e32 v11, vcc, v4, v11, vcc
	global_load_dword v1, v[10:11], off
	s_ashr_i32 s5, s4, 31
	s_lshl_b64 s[0:1], s[4:5], 3
	s_add_u32 s0, s2, s0
	s_addc_u32 s1, s3, s1
	s_load_dwordx2 s[14:15], s[0:1], 0x0
	s_waitcnt vmcnt(1)
	v_mov_b32_e32 v9, v8
	v_max_f32_e32 v8, v6, v6
	v_mov_b32_e32 v10, v7
	s_add_i32 s11, s11, -1
	s_waitcnt lgkmcnt(0)
	v_max_f32_e64 v7, s14, s14
	v_max_f32_e32 v7, v8, v7
	v_sub_f32_e32 v11, s14, v7
	v_sub_f32_e32 v8, v6, v7
	v_mul_f32_e32 v12, 0x3fb8aa3b, v11
	v_mov_b32_e32 v6, v7
	v_mul_f32_e32 v7, 0x3fb8aa3b, v8
	v_fma_f32 v15, v11, s6, -v12
	v_rndne_f32_e32 v16, v12
	v_fma_f32 v13, v8, s6, -v7
	v_rndne_f32_e32 v14, v7
	v_fmac_f32_e32 v15, 0x32a5705f, v11
	v_sub_f32_e32 v12, v12, v16
	v_fmac_f32_e32 v13, 0x32a5705f, v8
	v_sub_f32_e32 v7, v7, v14
	v_add_f32_e32 v12, v12, v15
	v_cvt_i32_f32_e32 v16, v16
	v_add_f32_e32 v7, v7, v13
	v_exp_f32_e32 v12, v12
	v_cvt_i32_f32_e32 v14, v14
	v_exp_f32_e32 v7, v7
	v_cmp_ngt_f32_e32 vcc, s7, v11
	v_ldexp_f32 v12, v12, v16
	v_cmp_ngt_f32_e64 s[0:1], s7, v8
	v_ldexp_f32 v7, v7, v14
	v_cndmask_b32_e32 v12, 0, v12, vcc
	v_cmp_nlt_f32_e32 vcc, s8, v11
	v_cndmask_b32_e64 v7, 0, v7, s[0:1]
	v_cmp_nlt_f32_e64 s[0:1], s8, v8
	v_cndmask_b32_e32 v12, v5, v12, vcc
	v_cmp_le_f32_e32 vcc, s12, v11
	v_cndmask_b32_e64 v7, v5, v7, s[0:1]
	v_cmp_le_f32_e64 s[0:1], s12, v8
	v_cndmask_b32_e32 v8, 0, v12, vcc
	s_sub_i32 s4, s4, 32
	v_cndmask_b32_e64 v11, 0, v7, s[0:1]
	v_mul_f32_e32 v7, s15, v8
	v_add_u32_e32 v0, 0xffffc000, v0
	s_cmp_le_i32 s11, s9
	v_fmac_f32_e32 v7, v10, v11
	s_waitcnt vmcnt(0)
	v_mul_f32_e32 v8, v1, v8
	v_fmac_f32_e32 v8, v9, v11
	s_cbranch_scc0 .LBB15_3
	s_branch .LBB15_5
.LBB15_4:
	s_waitcnt lgkmcnt(0)
	v_mov_b32_e32 v7, s5
.LBB15_5:
	s_waitcnt vmcnt(0)
	v_div_scale_f32 v0, s[0:1], v7, v7, v8
	v_rcp_f32_e32 v1, v0
	v_div_scale_f32 v4, vcc, v8, v7, v8
	v_fma_f32 v5, -v0, v1, 1.0
	v_fmac_f32_e32 v1, v5, v1
	v_mul_f32_e32 v5, v4, v1
	v_fma_f32 v6, -v0, v5, v4
	v_fmac_f32_e32 v5, v6, v1
	v_fma_f32 v0, -v0, v5, v4
	v_div_fmas_f32 v0, v0, v1, v5
	v_div_fixup_f32 v0, v0, v7, v8
	global_store_dword v[2:3], v0, off
.LBB15_6:
	s_endpgm
	.section	.rodata,"a",@progbits
	.p2align	6, 0x0
	.amdhsa_kernel _ZL33flash_attn_stream_k_fixup_uniformILi512ELi8ELi4EEvPfPK15HIP_vector_typeIfLj2EEiiiiiiS1_IjLj3EES5_S5_
		.amdhsa_group_segment_fixed_size 0
		.amdhsa_private_segment_fixed_size 0
		.amdhsa_kernarg_size 76
		.amdhsa_user_sgpr_count 6
		.amdhsa_user_sgpr_private_segment_buffer 1
		.amdhsa_user_sgpr_dispatch_ptr 0
		.amdhsa_user_sgpr_queue_ptr 0
		.amdhsa_user_sgpr_kernarg_segment_ptr 1
		.amdhsa_user_sgpr_dispatch_id 0
		.amdhsa_user_sgpr_flat_scratch_init 0
		.amdhsa_user_sgpr_kernarg_preload_length 0
		.amdhsa_user_sgpr_kernarg_preload_offset 0
		.amdhsa_user_sgpr_private_segment_size 0
		.amdhsa_uses_dynamic_stack 0
		.amdhsa_system_sgpr_private_segment_wavefront_offset 0
		.amdhsa_system_sgpr_workgroup_id_x 1
		.amdhsa_system_sgpr_workgroup_id_y 1
		.amdhsa_system_sgpr_workgroup_id_z 1
		.amdhsa_system_sgpr_workgroup_info 0
		.amdhsa_system_vgpr_workitem_id 0
		.amdhsa_next_free_vgpr 17
		.amdhsa_next_free_sgpr 20
		.amdhsa_accum_offset 20
		.amdhsa_reserve_vcc 1
		.amdhsa_reserve_flat_scratch 0
		.amdhsa_float_round_mode_32 0
		.amdhsa_float_round_mode_16_64 0
		.amdhsa_float_denorm_mode_32 3
		.amdhsa_float_denorm_mode_16_64 3
		.amdhsa_dx10_clamp 1
		.amdhsa_ieee_mode 1
		.amdhsa_fp16_overflow 0
		.amdhsa_tg_split 0
		.amdhsa_exception_fp_ieee_invalid_op 0
		.amdhsa_exception_fp_denorm_src 0
		.amdhsa_exception_fp_ieee_div_zero 0
		.amdhsa_exception_fp_ieee_overflow 0
		.amdhsa_exception_fp_ieee_underflow 0
		.amdhsa_exception_fp_ieee_inexact 0
		.amdhsa_exception_int_div_zero 0
	.end_amdhsa_kernel
	.section	.text._ZL33flash_attn_stream_k_fixup_uniformILi512ELi8ELi4EEvPfPK15HIP_vector_typeIfLj2EEiiiiiiS1_IjLj3EES5_S5_,"axG",@progbits,_ZL33flash_attn_stream_k_fixup_uniformILi512ELi8ELi4EEvPfPK15HIP_vector_typeIfLj2EEiiiiiiS1_IjLj3EES5_S5_,comdat
.Lfunc_end15:
	.size	_ZL33flash_attn_stream_k_fixup_uniformILi512ELi8ELi4EEvPfPK15HIP_vector_typeIfLj2EEiiiiiiS1_IjLj3EES5_S5_, .Lfunc_end15-_ZL33flash_attn_stream_k_fixup_uniformILi512ELi8ELi4EEvPfPK15HIP_vector_typeIfLj2EEiiiiiiS1_IjLj3EES5_S5_
                                        ; -- End function
	.section	.AMDGPU.csdata,"",@progbits
; Kernel info:
; codeLenInByte = 856
; NumSgprs: 24
; NumVgprs: 17
; NumAgprs: 0
; TotalNumVgprs: 17
; ScratchSize: 0
; MemoryBound: 0
; FloatMode: 240
; IeeeMode: 1
; LDSByteSize: 0 bytes/workgroup (compile time only)
; SGPRBlocks: 2
; VGPRBlocks: 2
; NumSGPRsForWavesPerEU: 24
; NumVGPRsForWavesPerEU: 17
; AccumOffset: 20
; Occupancy: 8
; WaveLimiterHint : 0
; COMPUTE_PGM_RSRC2:SCRATCH_EN: 0
; COMPUTE_PGM_RSRC2:USER_SGPR: 6
; COMPUTE_PGM_RSRC2:TRAP_HANDLER: 0
; COMPUTE_PGM_RSRC2:TGID_X_EN: 1
; COMPUTE_PGM_RSRC2:TGID_Y_EN: 1
; COMPUTE_PGM_RSRC2:TGID_Z_EN: 1
; COMPUTE_PGM_RSRC2:TIDIG_COMP_CNT: 0
; COMPUTE_PGM_RSRC3_GFX90A:ACCUM_OFFSET: 4
; COMPUTE_PGM_RSRC3_GFX90A:TG_SPLIT: 0
	.section	.text._ZL33flash_attn_stream_k_fixup_generalILi512ELi8ELi4EEvPfPK15HIP_vector_typeIfLj2EEiiiiS1_IjLj3EES5_S5_S5_,"axG",@progbits,_ZL33flash_attn_stream_k_fixup_generalILi512ELi8ELi4EEvPfPK15HIP_vector_typeIfLj2EEiiiiS1_IjLj3EES5_S5_S5_,comdat
	.globl	_ZL33flash_attn_stream_k_fixup_generalILi512ELi8ELi4EEvPfPK15HIP_vector_typeIfLj2EEiiiiS1_IjLj3EES5_S5_S5_ ; -- Begin function _ZL33flash_attn_stream_k_fixup_generalILi512ELi8ELi4EEvPfPK15HIP_vector_typeIfLj2EEiiiiS1_IjLj3EES5_S5_S5_
	.p2align	8
	.type	_ZL33flash_attn_stream_k_fixup_generalILi512ELi8ELi4EEvPfPK15HIP_vector_typeIfLj2EEiiiiS1_IjLj3EES5_S5_S5_,@function
_ZL33flash_attn_stream_k_fixup_generalILi512ELi8ELi4EEvPfPK15HIP_vector_typeIfLj2EEiiiiS1_IjLj3EES5_S5_S5_: ; @_ZL33flash_attn_stream_k_fixup_generalILi512ELi8ELi4EEvPfPK15HIP_vector_typeIfLj2EEiiiiS1_IjLj3EES5_S5_S5_
; %bb.0:
	s_load_dwordx4 s[12:15], s[4:5], 0x10
	s_load_dword s9, s[4:5], 0x50
	s_mov_b32 s2, 0
	s_waitcnt lgkmcnt(0)
	s_mul_hi_i32 s3, s15, s6
	s_cmp_lg_u64 s[2:3], 0
	s_mul_i32 s2, s15, s6
	s_cbranch_scc0 .LBB16_21
; %bb.1:
	v_cvt_f32_u32_e32 v1, s9
	v_cvt_f32_ubyte0_e32 v2, 0
	s_sub_u32 s10, 0, s9
	s_subb_u32 s11, 0, 0
	v_madmk_f32 v1, v2, 0x4f800000, v1
	v_rcp_f32_e32 v1, v1
	v_mul_f32_e32 v1, 0x5f7ffffc, v1
	v_mul_f32_e32 v2, 0x2f800000, v1
	v_trunc_f32_e32 v2, v2
	v_madmk_f32 v1, v2, 0xcf800000, v1
	v_cvt_u32_f32_e32 v2, v2
	v_cvt_u32_f32_e32 v1, v1
	v_readfirstlane_b32 s16, v2
	v_readfirstlane_b32 s17, v1
	s_mul_i32 s18, s10, s16
	s_mul_hi_u32 s20, s10, s17
	s_mul_i32 s19, s11, s17
	s_add_i32 s18, s20, s18
	s_add_i32 s18, s18, s19
	s_mul_i32 s21, s10, s17
	s_mul_hi_u32 s19, s17, s18
	s_mul_i32 s20, s17, s18
	s_mul_hi_u32 s17, s17, s21
	s_add_u32 s17, s17, s20
	s_addc_u32 s19, 0, s19
	s_mul_hi_u32 s22, s16, s21
	s_mul_i32 s21, s16, s21
	s_add_u32 s17, s17, s21
	s_mul_hi_u32 s20, s16, s18
	s_addc_u32 s17, s19, s22
	s_addc_u32 s19, s20, 0
	s_mul_i32 s18, s16, s18
	s_add_u32 s17, s17, s18
	s_addc_u32 s18, 0, s19
	v_add_co_u32_e32 v1, vcc, s17, v1
	s_cmp_lg_u64 vcc, 0
	s_addc_u32 s16, s16, s18
	v_readfirstlane_b32 s18, v1
	s_mul_i32 s17, s10, s16
	s_mul_hi_u32 s19, s10, s18
	s_add_i32 s17, s19, s17
	s_mul_i32 s11, s11, s18
	s_add_i32 s17, s17, s11
	s_mul_i32 s10, s10, s18
	s_mul_hi_u32 s19, s16, s10
	s_mul_i32 s20, s16, s10
	s_mul_i32 s22, s18, s17
	s_mul_hi_u32 s10, s18, s10
	s_mul_hi_u32 s21, s18, s17
	s_add_u32 s10, s10, s22
	s_addc_u32 s18, 0, s21
	s_add_u32 s10, s10, s20
	s_mul_hi_u32 s11, s16, s17
	s_addc_u32 s10, s18, s19
	s_addc_u32 s11, s11, 0
	s_mul_i32 s17, s16, s17
	s_add_u32 s10, s10, s17
	s_addc_u32 s11, 0, s11
	v_add_co_u32_e32 v1, vcc, s10, v1
	s_cmp_lg_u64 vcc, 0
	s_addc_u32 s18, s16, s11
	s_ashr_i32 s10, s3, 31
	s_add_u32 s16, s2, s10
	s_mov_b32 s11, s10
	s_addc_u32 s17, s3, s10
	s_xor_b64 s[16:17], s[16:17], s[10:11]
	v_readfirstlane_b32 s20, v1
	s_mul_i32 s19, s16, s18
	s_mul_hi_u32 s21, s16, s20
	s_mul_hi_u32 s3, s16, s18
	s_add_u32 s19, s21, s19
	s_addc_u32 s3, 0, s3
	s_mul_hi_u32 s22, s17, s20
	s_mul_i32 s20, s17, s20
	s_add_u32 s19, s19, s20
	s_mul_hi_u32 s21, s17, s18
	s_addc_u32 s3, s3, s22
	s_addc_u32 s19, s21, 0
	s_mul_i32 s18, s17, s18
	s_add_u32 s3, s3, s18
	s_addc_u32 s18, 0, s19
	s_add_u32 s19, s3, 1
	s_addc_u32 s20, s18, 0
	s_add_u32 s21, s3, 2
	s_mul_i32 s23, s9, s18
	s_mul_hi_u32 s24, s9, s3
	s_addc_u32 s22, s18, 0
	s_add_i32 s24, s24, s23
	s_mul_i32 s23, s9, s3
	v_mov_b32_e32 v1, s23
	v_sub_co_u32_e32 v1, vcc, s16, v1
	s_cmp_lg_u64 vcc, 0
	s_subb_u32 s16, s17, s24
	v_subrev_co_u32_e32 v2, vcc, s9, v1
	s_cmp_lg_u64 vcc, 0
	s_subb_u32 s17, s16, 0
	v_readfirstlane_b32 s23, v2
	s_cmp_ge_u32 s23, s9
	s_cselect_b32 s23, -1, 0
	s_cmp_eq_u32 s17, 0
	s_cselect_b32 s17, s23, -1
	s_cmp_lg_u32 s17, 0
	s_cselect_b32 s17, s22, s20
	v_readfirstlane_b32 s20, v1
	s_cselect_b32 s19, s21, s19
	s_cmp_ge_u32 s20, s9
	s_cselect_b32 s20, -1, 0
	s_cmp_eq_u32 s16, 0
	s_cselect_b32 s16, s20, -1
	s_cmp_lg_u32 s16, 0
	s_cselect_b32 s17, s17, s18
	s_cselect_b32 s16, s19, s3
	s_xor_b64 s[16:17], s[16:17], s[10:11]
	s_sub_u32 s20, s16, s10
	s_load_dwordx4 s[16:19], s[4:5], 0x44
	s_cbranch_execnz .LBB16_3
.LBB16_2:
	v_cvt_f32_u32_e32 v1, s9
	s_sub_i32 s0, 0, s9
	v_rcp_iflag_f32_e32 v1, v1
	v_mul_f32_e32 v1, 0x4f7ffffe, v1
	v_cvt_u32_f32_e32 v1, v1
	v_readfirstlane_b32 s1, v1
	s_mul_i32 s0, s0, s1
	s_mul_hi_u32 s0, s1, s0
	s_add_i32 s1, s1, s0
	s_mul_hi_u32 s0, s2, s1
	s_mul_i32 s3, s0, s9
	s_sub_i32 s2, s2, s3
	s_add_i32 s1, s0, 1
	s_sub_i32 s3, s2, s9
	s_cmp_ge_u32 s2, s9
	s_cselect_b32 s0, s1, s0
	s_cselect_b32 s2, s3, s2
	s_add_i32 s1, s0, 1
	s_cmp_ge_u32 s2, s9
	s_cselect_b32 s20, s1, s0
.LBB16_3:
	s_add_i32 s0, s6, 1
	s_mul_hi_i32 s3, s15, s0
	s_mov_b32 s2, 0
	s_cmp_lg_u64 s[2:3], 0
	s_mul_i32 s2, s15, s0
	s_cbranch_scc0 .LBB16_22
; %bb.4:
	v_cvt_f32_u32_e32 v1, s9
	v_cvt_f32_ubyte0_e32 v2, 0
	s_sub_u32 s10, 0, s9
	s_subb_u32 s11, 0, 0
	v_madmk_f32 v1, v2, 0x4f800000, v1
	v_rcp_f32_e32 v1, v1
	v_mul_f32_e32 v1, 0x5f7ffffc, v1
	v_mul_f32_e32 v2, 0x2f800000, v1
	v_trunc_f32_e32 v2, v2
	v_madmk_f32 v1, v2, 0xcf800000, v1
	v_cvt_u32_f32_e32 v2, v2
	v_cvt_u32_f32_e32 v1, v1
	s_waitcnt lgkmcnt(0)
	v_readfirstlane_b32 s19, v2
	v_readfirstlane_b32 s21, v1
	s_mul_i32 s22, s10, s19
	s_mul_hi_u32 s24, s10, s21
	s_mul_i32 s23, s11, s21
	s_add_i32 s22, s24, s22
	s_add_i32 s22, s22, s23
	s_mul_i32 s25, s10, s21
	s_mul_hi_u32 s23, s21, s22
	s_mul_i32 s24, s21, s22
	s_mul_hi_u32 s21, s21, s25
	s_add_u32 s21, s21, s24
	s_addc_u32 s23, 0, s23
	s_mul_hi_u32 s26, s19, s25
	s_mul_i32 s25, s19, s25
	s_add_u32 s21, s21, s25
	s_mul_hi_u32 s24, s19, s22
	s_addc_u32 s21, s23, s26
	s_addc_u32 s23, s24, 0
	s_mul_i32 s22, s19, s22
	s_add_u32 s21, s21, s22
	s_addc_u32 s22, 0, s23
	v_add_co_u32_e32 v1, vcc, s21, v1
	s_cmp_lg_u64 vcc, 0
	s_addc_u32 s19, s19, s22
	v_readfirstlane_b32 s22, v1
	s_mul_i32 s21, s10, s19
	s_mul_hi_u32 s23, s10, s22
	s_add_i32 s21, s23, s21
	s_mul_i32 s11, s11, s22
	s_add_i32 s21, s21, s11
	s_mul_i32 s10, s10, s22
	s_mul_hi_u32 s23, s19, s10
	s_mul_i32 s24, s19, s10
	s_mul_i32 s26, s22, s21
	s_mul_hi_u32 s10, s22, s10
	s_mul_hi_u32 s25, s22, s21
	s_add_u32 s10, s10, s26
	s_addc_u32 s22, 0, s25
	s_add_u32 s10, s10, s24
	s_mul_hi_u32 s11, s19, s21
	s_addc_u32 s10, s22, s23
	s_addc_u32 s11, s11, 0
	s_mul_i32 s21, s19, s21
	s_add_u32 s10, s10, s21
	s_addc_u32 s11, 0, s11
	v_add_co_u32_e32 v1, vcc, s10, v1
	s_cmp_lg_u64 vcc, 0
	s_addc_u32 s19, s19, s11
	s_ashr_i32 s10, s3, 31
	s_add_u32 s22, s2, s10
	s_mov_b32 s11, s10
	s_addc_u32 s23, s3, s10
	s_xor_b64 s[22:23], s[22:23], s[10:11]
	v_readfirstlane_b32 s21, v1
	s_mul_i32 s11, s22, s19
	s_mul_hi_u32 s24, s22, s21
	s_mul_hi_u32 s3, s22, s19
	s_add_u32 s11, s24, s11
	s_addc_u32 s3, 0, s3
	s_mul_hi_u32 s25, s23, s21
	s_mul_i32 s21, s23, s21
	s_add_u32 s11, s11, s21
	s_mul_hi_u32 s24, s23, s19
	s_addc_u32 s3, s3, s25
	s_addc_u32 s11, s24, 0
	s_mul_i32 s19, s23, s19
	s_add_u32 s3, s3, s19
	s_addc_u32 s11, 0, s11
	s_mul_i32 s11, s9, s11
	s_mul_hi_u32 s24, s9, s3
	s_add_i32 s24, s24, s11
	s_mul_i32 s11, s9, s3
	v_mov_b32_e32 v1, s11
	s_add_u32 s19, s3, 1
	s_add_u32 s21, s3, 2
	v_sub_co_u32_e32 v1, vcc, s22, v1
	s_cmp_lg_u64 vcc, 0
	s_subb_u32 s11, s23, s24
	v_subrev_co_u32_e32 v2, vcc, s9, v1
	s_cmp_lg_u64 vcc, 0
	s_subb_u32 s22, s11, 0
	v_cmp_le_u32_e32 vcc, s9, v2
	s_cmp_eq_u32 s22, 0
	v_cndmask_b32_e64 v2, 0, -1, vcc
	s_cselect_b64 vcc, -1, 0
	v_cndmask_b32_e32 v2, -1, v2, vcc
	v_mov_b32_e32 v3, s19
	v_mov_b32_e32 v4, s21
	v_cmp_ne_u32_e32 vcc, 0, v2
	v_cndmask_b32_e32 v2, v3, v4, vcc
	v_cmp_le_u32_e32 vcc, s9, v1
	s_cmp_eq_u32 s11, 0
	v_cndmask_b32_e64 v1, 0, -1, vcc
	s_cselect_b64 vcc, -1, 0
	v_cndmask_b32_e32 v1, -1, v1, vcc
	v_mov_b32_e32 v3, s3
	v_cmp_ne_u32_e32 vcc, 0, v1
	v_cndmask_b32_e32 v1, v3, v2, vcc
	v_xor_b32_e32 v1, s10, v1
	v_subrev_co_u32_e32 v2, vcc, s10, v1
	s_cbranch_execnz .LBB16_6
.LBB16_5:
	v_cvt_f32_u32_e32 v1, s9
	s_sub_i32 s0, 0, s9
	s_mov_b32 s1, 0
	v_rcp_iflag_f32_e32 v1, v1
	v_mul_f32_e32 v1, 0x4f7ffffe, v1
	v_cvt_u32_f32_e32 v1, v1
	v_readfirstlane_b32 s3, v1
	s_mul_i32 s0, s0, s3
	s_mul_hi_u32 s0, s3, s0
	s_add_i32 s3, s3, s0
	s_mul_hi_u32 s0, s2, s3
	s_mul_i32 s10, s0, s9
	s_sub_i32 s2, s2, s10
	s_add_i32 s3, s0, 1
	s_sub_i32 s10, s2, s9
	s_cmp_ge_u32 s2, s9
	s_cselect_b32 s0, s3, s0
	s_cselect_b32 s2, s10, s2
	s_add_i32 s3, s0, 1
	s_cmp_ge_u32 s2, s9
	s_cselect_b32 s0, s3, s0
	v_pk_mov_b32 v[2:3], s[0:1], s[0:1] op_sel:[0,1]
.LBB16_6:
	s_waitcnt lgkmcnt(0)
	s_mul_hi_u32 s0, s20, s16
	s_add_i32 s0, s0, s20
	v_mul_hi_u32 v1, v2, s16
	s_lshr_b32 s19, s0, s17
	v_add_u32_e32 v1, v1, v2
	s_mul_i32 s0, s19, s18
	v_lshrrev_b32_e32 v1, s17, v1
	s_cmp_eq_u32 s0, s20
	v_cmp_eq_u32_e64 s[0:1], s19, v1
	v_mul_lo_u32 v1, v1, s18
	v_cmp_eq_u32_e32 vcc, s20, v2
	s_cselect_b64 s[10:11], -1, 0
	v_cmp_ne_u32_e64 s[2:3], v1, v2
	s_and_b64 s[0:1], s[0:1], s[2:3]
	s_or_b64 s[2:3], vcc, s[10:11]
	s_or_b64 s[0:1], s[2:3], s[0:1]
	s_and_b64 vcc, exec, s[0:1]
	s_cbranch_vccnz .LBB16_24
; %bb.7:
	s_load_dwordx8 s[24:31], s[4:5], 0x20
	s_load_dword s0, s[4:5], 0x40
	s_mov_b32 s10, 0
	s_waitcnt lgkmcnt(0)
	s_mul_hi_u32 s1, s20, s24
	s_add_i32 s1, s1, s20
	s_lshr_b32 s11, s1, s25
	s_mul_i32 s1, s11, s26
	s_sub_i32 s1, s20, s1
	s_mul_hi_u32 s2, s1, s27
	s_add_i32 s2, s1, s2
	s_lshr_b32 s24, s2, s28
	s_mul_i32 s2, s24, s29
	s_sub_i32 s1, s1, s2
	;; [unrolled: 5-line block ×3, first 2 shown]
	s_mul_hi_u32 s1, s0, s16
	s_add_i32 s0, s0, s1
	s_lshr_b32 s26, s0, s17
	s_lshl_b32 s0, s26, 3
	s_lshl_b32 s25, s2, 2
	s_add_i32 s0, s0, s7
	s_cmp_lt_i32 s0, s12
	s_cselect_b64 s[0:1], -1, 0
	s_add_i32 s2, s25, s8
	s_cmp_lt_i32 s2, s14
	s_cselect_b64 s[2:3], -1, 0
	s_and_b64 s[0:1], s[0:1], s[2:3]
	s_andn2_b64 vcc, exec, s[0:1]
	s_cbranch_vccnz .LBB16_24
; %bb.8:
	s_load_dwordx4 s[0:3], s[4:5], 0x0
	s_lshl_b32 s21, s7, 2
	s_lshl_b32 s4, s9, 7
	s_mov_b32 s5, s10
	s_add_i32 s21, s21, s8
	s_lshl_b64 s[4:5], s[4:5], 2
	s_waitcnt lgkmcnt(0)
	s_add_u32 s22, s2, s4
	s_mul_i32 s4, s11, s12
	s_addc_u32 s23, s3, s5
	s_add_i32 s4, s4, s7
	s_mul_i32 s4, s4, s13
	s_mul_i32 s24, s24, s14
	s_add_i32 s4, s4, s8
	s_add_i32 s4, s4, s24
	s_mul_i32 s5, s13, s26
	s_add_i32 s4, s4, s25
	s_lshl_b32 s5, s5, 12
	s_lshl_b32 s4, s4, 9
	s_add_i32 s5, s5, s4
	v_or_b32_e32 v2, s5, v0
	v_ashrrev_i32_e32 v3, 31, v2
	v_lshlrev_b64 v[2:3], 2, v[2:3]
	v_mov_b32_e32 v1, s1
	v_add_co_u32_e32 v2, vcc, s0, v2
	v_addc_co_u32_e32 v3, vcc, v1, v3, vcc
	global_load_dword v5, v[2:3], off
	v_lshl_or_b32 v4, s21, 9, v0
	v_cvt_f32_u32_e32 v0, s9
	v_cvt_f32_ubyte0_e32 v1, 0
	s_lshl_b32 s0, s6, 5
	s_add_i32 s0, s21, s0
	v_mac_f32_e32 v0, 0x4f800000, v1
	v_rcp_f32_e32 v0, v0
	v_cvt_f32_u32_e32 v1, s9
	s_ashr_i32 s1, s0, 31
	s_lshl_b64 s[0:1], s[0:1], 3
	v_mul_f32_e32 v0, 0x5f7ffffc, v0
	v_rcp_iflag_f32_e32 v1, v1
	s_add_u32 s0, s2, s0
	v_mul_f32_e32 v9, 0x2f800000, v0
	s_addc_u32 s1, s3, s1
	v_trunc_f32_e32 v10, v9
	s_load_dwordx2 s[0:1], s[0:1], 0x0
	v_mac_f32_e32 v0, 0xcf800000, v10
	v_cvt_u32_f32_e32 v9, v0
	v_mul_f32_e32 v0, 0x4f7ffffe, v1
	v_cvt_u32_f32_e32 v10, v10
	v_cvt_u32_f32_e32 v11, v0
	s_add_i32 s8, s6, -1
	s_waitcnt lgkmcnt(0)
	v_mov_b32_e32 v6, s1
	v_mov_b32_e32 v7, s0
	;; [unrolled: 1-line block ×3, first 2 shown]
	s_mov_b32 s6, 0x3fb8aa3b
	s_mov_b32 s7, 0xc2ce8ed0
	;; [unrolled: 1-line block ×4, first 2 shown]
	v_mov_b32_e32 v12, 0x7f800000
	s_mul_hi_i32 s11, s8, s15
	s_cmp_lg_u64 s[10:11], 0
	s_mul_i32 s4, s8, s15
	s_cbranch_scc0 .LBB16_15
.LBB16_9:
	s_sub_u32 s0, 0, s9
	v_readfirstlane_b32 s5, v9
	v_readfirstlane_b32 s24, v10
	s_subb_u32 s1, 0, 0
	s_mul_hi_u32 s20, s0, s5
	s_mul_i32 s25, s0, s24
	s_mul_i32 s14, s1, s5
	s_add_i32 s20, s20, s25
	s_add_i32 s20, s20, s14
	s_mul_i32 s26, s0, s5
	s_mul_hi_u32 s14, s5, s20
	s_mul_i32 s25, s5, s20
	s_mul_hi_u32 s5, s5, s26
	s_add_u32 s5, s5, s25
	s_addc_u32 s14, 0, s14
	s_mul_hi_u32 s27, s24, s26
	s_mul_i32 s26, s24, s26
	s_add_u32 s5, s5, s26
	s_mul_hi_u32 s25, s24, s20
	s_addc_u32 s5, s14, s27
	s_addc_u32 s14, s25, 0
	s_mul_i32 s20, s24, s20
	s_add_u32 s5, s5, s20
	s_addc_u32 s14, 0, s14
	v_add_co_u32_e32 v0, vcc, s5, v9
	s_cmp_lg_u64 vcc, 0
	s_addc_u32 s5, s24, s14
	v_readfirstlane_b32 s20, v0
	s_mul_i32 s14, s0, s5
	s_mul_hi_u32 s24, s0, s20
	s_add_i32 s14, s24, s14
	s_mul_i32 s1, s1, s20
	s_add_i32 s14, s14, s1
	s_mul_i32 s0, s0, s20
	s_mul_hi_u32 s24, s5, s0
	s_mul_i32 s25, s5, s0
	s_mul_i32 s27, s20, s14
	s_mul_hi_u32 s0, s20, s0
	s_mul_hi_u32 s26, s20, s14
	s_add_u32 s0, s0, s27
	s_addc_u32 s20, 0, s26
	s_add_u32 s0, s0, s25
	s_mul_hi_u32 s1, s5, s14
	s_addc_u32 s0, s20, s24
	s_addc_u32 s1, s1, 0
	s_mul_i32 s14, s5, s14
	s_add_u32 s0, s0, s14
	s_addc_u32 s1, 0, s1
	v_add_co_u32_e32 v0, vcc, s0, v0
	s_cmp_lg_u64 vcc, 0
	s_addc_u32 s5, s5, s1
	s_ashr_i32 s0, s11, 31
	s_add_u32 s24, s4, s0
	s_mov_b32 s1, s0
	s_addc_u32 s25, s11, s0
	s_xor_b64 s[24:25], s[24:25], s[0:1]
	v_readfirstlane_b32 s14, v0
	s_mul_i32 s11, s24, s5
	s_mul_hi_u32 s20, s24, s14
	s_mul_hi_u32 s1, s24, s5
	s_add_u32 s11, s20, s11
	s_addc_u32 s1, 0, s1
	s_mul_hi_u32 s26, s25, s14
	s_mul_i32 s14, s25, s14
	s_add_u32 s11, s11, s14
	s_mul_hi_u32 s20, s25, s5
	s_addc_u32 s1, s1, s26
	s_addc_u32 s11, s20, 0
	s_mul_i32 s5, s25, s5
	s_add_u32 s1, s1, s5
	s_addc_u32 s5, 0, s11
	s_mul_i32 s5, s9, s5
	s_mul_hi_u32 s20, s9, s1
	s_add_i32 s20, s20, s5
	s_mul_i32 s5, s9, s1
	v_mov_b32_e32 v0, s5
	s_add_u32 s11, s1, 1
	s_add_u32 s14, s1, 2
	v_sub_co_u32_e32 v0, vcc, s24, v0
	s_cmp_lg_u64 vcc, 0
	s_subb_u32 s5, s25, s20
	v_subrev_co_u32_e32 v1, vcc, s9, v0
	s_cmp_lg_u64 vcc, 0
	s_subb_u32 s20, s5, 0
	v_cmp_le_u32_e32 vcc, s9, v1
	s_cmp_eq_u32 s20, 0
	v_cndmask_b32_e64 v1, 0, -1, vcc
	s_cselect_b64 vcc, -1, 0
	v_cndmask_b32_e32 v1, -1, v1, vcc
	v_mov_b32_e32 v13, s11
	v_mov_b32_e32 v14, s14
	v_cmp_ne_u32_e32 vcc, 0, v1
	v_cndmask_b32_e32 v1, v13, v14, vcc
	v_cmp_le_u32_e32 vcc, s9, v0
	s_cmp_eq_u32 s5, 0
	v_cndmask_b32_e64 v0, 0, -1, vcc
	s_cselect_b64 vcc, -1, 0
	v_cndmask_b32_e32 v0, -1, v0, vcc
	v_mov_b32_e32 v13, s1
	v_cmp_ne_u32_e32 vcc, 0, v0
	v_cndmask_b32_e32 v0, v13, v1, vcc
	v_xor_b32_e32 v0, s0, v0
	v_subrev_co_u32_e32 v0, vcc, s0, v0
	s_cbranch_execnz .LBB16_11
.LBB16_10:
	s_sub_i32 s0, 0, s9
	v_mul_lo_u32 v0, s0, v11
	v_mul_hi_u32 v0, v11, v0
	v_add_u32_e32 v0, v11, v0
	v_mul_hi_u32 v0, s4, v0
	v_mul_lo_u32 v13, v0, s9
	v_sub_u32_e32 v13, s4, v13
	v_add_u32_e32 v1, 1, v0
	v_subrev_u32_e32 v14, s9, v13
	v_cmp_le_u32_e32 vcc, s9, v13
	v_cndmask_b32_e32 v13, v13, v14, vcc
	v_cndmask_b32_e32 v0, v0, v1, vcc
	v_add_u32_e32 v1, 1, v0
	v_cmp_le_u32_e32 vcc, s9, v13
	v_cndmask_b32_e32 v0, v0, v1, vcc
.LBB16_11:
	v_cmp_ne_u32_e32 vcc, v8, v0
	s_cbranch_vccz .LBB16_14
; %bb.12:
	s_add_i32 s0, s8, s9
	s_lshl_b32 s0, s0, 5
	v_mul_hi_u32 v1, v0, s16
	s_add_i32 s0, s0, s21
	s_mov_b32 s1, s10
	v_add_u32_e32 v1, v1, v0
	s_lshl_b64 s[0:1], s[0:1], 3
	v_lshrrev_b32_e32 v1, s17, v1
	s_add_u32 s4, s2, s0
	v_mul_lo_u32 v13, v1, s18
	s_addc_u32 s5, s3, s1
	v_cmp_eq_u32_e32 vcc, v13, v0
	v_cmp_gt_u32_e64 s[0:1], s19, v1
	s_or_b64 s[0:1], s[0:1], vcc
	s_and_b64 vcc, exec, s[0:1]
	s_cbranch_vccnz .LBB16_16
; %bb.13:
	s_add_i32 s11, s8, -1
	s_mov_b64 s[0:1], 0
	s_branch .LBB16_17
.LBB16_14:
                                        ; implicit-def: $sgpr0_sgpr1
                                        ; implicit-def: $vgpr14
                                        ; implicit-def: $vgpr1
                                        ; implicit-def: $vgpr13
                                        ; implicit-def: $sgpr11
                                        ; implicit-def: $vgpr0
	s_branch .LBB16_18
.LBB16_15:
                                        ; implicit-def: $vgpr0_vgpr1
	s_branch .LBB16_10
.LBB16_16:
	s_mov_b64 s[0:1], -1
	s_mov_b32 s11, s8
	v_mov_b32_e32 v0, v8
.LBB16_17:
	v_lshl_add_u32 v14, s8, 14, v4
	v_ashrrev_i32_e32 v15, 31, v14
	v_lshlrev_b64 v[14:15], 2, v[14:15]
	v_mov_b32_e32 v1, s23
	v_add_co_u32_e32 v14, vcc, s22, v14
	v_addc_co_u32_e32 v15, vcc, v1, v15, vcc
	global_load_dword v14, v[14:15], off
	s_load_dwordx2 s[4:5], s[4:5], 0x0
	v_max_f32_e32 v1, v7, v7
	s_waitcnt lgkmcnt(0)
	v_max_f32_e64 v13, s4, s4
	v_max_f32_e32 v1, v1, v13
	v_sub_f32_e32 v13, v7, v1
	v_sub_f32_e32 v15, s4, v1
	v_mul_f32_e32 v16, 0x3fb8aa3b, v13
	v_mul_f32_e32 v17, 0x3fb8aa3b, v15
	v_fma_f32 v18, v13, s6, -v16
	v_rndne_f32_e32 v19, v16
	v_fma_f32 v20, v15, s6, -v17
	v_rndne_f32_e32 v21, v17
	v_fmac_f32_e32 v18, 0x32a5705f, v13
	v_sub_f32_e32 v16, v16, v19
	v_fmac_f32_e32 v20, 0x32a5705f, v15
	v_sub_f32_e32 v17, v17, v21
	v_add_f32_e32 v16, v16, v18
	v_cvt_i32_f32_e32 v19, v19
	v_add_f32_e32 v17, v17, v20
	v_exp_f32_e32 v16, v16
	v_cvt_i32_f32_e32 v21, v21
	v_exp_f32_e32 v17, v17
	v_cmp_ngt_f32_e32 vcc, s7, v13
	v_ldexp_f32 v16, v16, v19
	v_cndmask_b32_e32 v16, 0, v16, vcc
	v_ldexp_f32 v17, v17, v21
	v_cmp_ngt_f32_e32 vcc, s7, v15
	v_cndmask_b32_e32 v17, 0, v17, vcc
	v_cmp_nlt_f32_e32 vcc, s12, v13
	v_cndmask_b32_e32 v16, v12, v16, vcc
	v_cmp_nlt_f32_e32 vcc, s12, v15
	v_cndmask_b32_e32 v17, v12, v17, vcc
	v_cmp_le_f32_e32 vcc, s13, v13
	v_cndmask_b32_e32 v16, 0, v16, vcc
	v_cmp_le_f32_e32 vcc, s13, v15
	v_cndmask_b32_e32 v15, 0, v17, vcc
	v_mul_f32_e32 v13, s5, v15
	v_fmac_f32_e32 v13, v6, v16
	s_waitcnt vmcnt(0)
	v_mul_f32_e32 v14, v14, v15
	v_fmac_f32_e32 v14, v5, v16
	s_cbranch_execnz .LBB16_19
.LBB16_18:
	s_add_i32 s11, s8, -1
	s_mov_b64 s[0:1], 0
	v_mov_b32_e32 v0, v8
	v_mov_b32_e32 v13, v6
	;; [unrolled: 1-line block ×3, first 2 shown]
	s_waitcnt vmcnt(0)
	v_mov_b32_e32 v14, v5
.LBB16_19:
	s_andn2_b64 vcc, exec, s[0:1]
	s_cbranch_vccz .LBB16_23
; %bb.20:
	v_mov_b32_e32 v8, v0
	s_mov_b32 s8, s11
	v_mov_b32_e32 v6, v13
	v_mov_b32_e32 v7, v1
	s_waitcnt vmcnt(0)
	v_mov_b32_e32 v5, v14
	s_mul_hi_i32 s11, s8, s15
	s_cmp_lg_u64 s[10:11], 0
	s_mul_i32 s4, s8, s15
	s_cbranch_scc1 .LBB16_9
	s_branch .LBB16_15
.LBB16_21:
                                        ; implicit-def: $sgpr20_sgpr21
	s_load_dwordx4 s[16:19], s[4:5], 0x44
	s_branch .LBB16_2
.LBB16_22:
                                        ; implicit-def: $vgpr2_vgpr3
	s_branch .LBB16_5
.LBB16_23:
	v_div_scale_f32 v0, s[0:1], v13, v13, v14
	v_rcp_f32_e32 v1, v0
	v_div_scale_f32 v4, vcc, v14, v13, v14
	s_waitcnt vmcnt(0)
	v_fma_f32 v5, -v0, v1, 1.0
	v_fmac_f32_e32 v1, v5, v1
	v_mul_f32_e32 v5, v4, v1
	v_fma_f32 v6, -v0, v5, v4
	v_fmac_f32_e32 v5, v6, v1
	v_fma_f32 v0, -v0, v5, v4
	v_div_fmas_f32 v0, v0, v1, v5
	v_div_fixup_f32 v0, v0, v13, v14
	global_store_dword v[2:3], v0, off
.LBB16_24:
	s_endpgm
	.section	.rodata,"a",@progbits
	.p2align	6, 0x0
	.amdhsa_kernel _ZL33flash_attn_stream_k_fixup_generalILi512ELi8ELi4EEvPfPK15HIP_vector_typeIfLj2EEiiiiS1_IjLj3EES5_S5_S5_
		.amdhsa_group_segment_fixed_size 0
		.amdhsa_private_segment_fixed_size 0
		.amdhsa_kernarg_size 336
		.amdhsa_user_sgpr_count 6
		.amdhsa_user_sgpr_private_segment_buffer 1
		.amdhsa_user_sgpr_dispatch_ptr 0
		.amdhsa_user_sgpr_queue_ptr 0
		.amdhsa_user_sgpr_kernarg_segment_ptr 1
		.amdhsa_user_sgpr_dispatch_id 0
		.amdhsa_user_sgpr_flat_scratch_init 0
		.amdhsa_user_sgpr_kernarg_preload_length 0
		.amdhsa_user_sgpr_kernarg_preload_offset 0
		.amdhsa_user_sgpr_private_segment_size 0
		.amdhsa_uses_dynamic_stack 0
		.amdhsa_system_sgpr_private_segment_wavefront_offset 0
		.amdhsa_system_sgpr_workgroup_id_x 1
		.amdhsa_system_sgpr_workgroup_id_y 1
		.amdhsa_system_sgpr_workgroup_id_z 1
		.amdhsa_system_sgpr_workgroup_info 0
		.amdhsa_system_vgpr_workitem_id 0
		.amdhsa_next_free_vgpr 22
		.amdhsa_next_free_sgpr 32
		.amdhsa_accum_offset 24
		.amdhsa_reserve_vcc 1
		.amdhsa_reserve_flat_scratch 0
		.amdhsa_float_round_mode_32 0
		.amdhsa_float_round_mode_16_64 0
		.amdhsa_float_denorm_mode_32 3
		.amdhsa_float_denorm_mode_16_64 3
		.amdhsa_dx10_clamp 1
		.amdhsa_ieee_mode 1
		.amdhsa_fp16_overflow 0
		.amdhsa_tg_split 0
		.amdhsa_exception_fp_ieee_invalid_op 0
		.amdhsa_exception_fp_denorm_src 0
		.amdhsa_exception_fp_ieee_div_zero 0
		.amdhsa_exception_fp_ieee_overflow 0
		.amdhsa_exception_fp_ieee_underflow 0
		.amdhsa_exception_fp_ieee_inexact 0
		.amdhsa_exception_int_div_zero 0
	.end_amdhsa_kernel
	.section	.text._ZL33flash_attn_stream_k_fixup_generalILi512ELi8ELi4EEvPfPK15HIP_vector_typeIfLj2EEiiiiS1_IjLj3EES5_S5_S5_,"axG",@progbits,_ZL33flash_attn_stream_k_fixup_generalILi512ELi8ELi4EEvPfPK15HIP_vector_typeIfLj2EEiiiiS1_IjLj3EES5_S5_S5_,comdat
.Lfunc_end16:
	.size	_ZL33flash_attn_stream_k_fixup_generalILi512ELi8ELi4EEvPfPK15HIP_vector_typeIfLj2EEiiiiS1_IjLj3EES5_S5_S5_, .Lfunc_end16-_ZL33flash_attn_stream_k_fixup_generalILi512ELi8ELi4EEvPfPK15HIP_vector_typeIfLj2EEiiiiS1_IjLj3EES5_S5_S5_
                                        ; -- End function
	.section	.AMDGPU.csdata,"",@progbits
; Kernel info:
; codeLenInByte = 2824
; NumSgprs: 36
; NumVgprs: 22
; NumAgprs: 0
; TotalNumVgprs: 22
; ScratchSize: 0
; MemoryBound: 0
; FloatMode: 240
; IeeeMode: 1
; LDSByteSize: 0 bytes/workgroup (compile time only)
; SGPRBlocks: 4
; VGPRBlocks: 2
; NumSGPRsForWavesPerEU: 36
; NumVGPRsForWavesPerEU: 22
; AccumOffset: 24
; Occupancy: 8
; WaveLimiterHint : 0
; COMPUTE_PGM_RSRC2:SCRATCH_EN: 0
; COMPUTE_PGM_RSRC2:USER_SGPR: 6
; COMPUTE_PGM_RSRC2:TRAP_HANDLER: 0
; COMPUTE_PGM_RSRC2:TGID_X_EN: 1
; COMPUTE_PGM_RSRC2:TGID_Y_EN: 1
; COMPUTE_PGM_RSRC2:TGID_Z_EN: 1
; COMPUTE_PGM_RSRC2:TIDIG_COMP_CNT: 0
; COMPUTE_PGM_RSRC3_GFX90A:ACCUM_OFFSET: 5
; COMPUTE_PGM_RSRC3_GFX90A:TG_SPLIT: 0
	.section	.text._ZL15flash_attn_tileILi512ELi512ELi4ELi4ELb0EEvPKcS1_S1_S1_S1_PKiPfP15HIP_vector_typeIfLj2EEffffjfiS5_IjLj3EEiiiiiiiiiiiliiliiiiil,"axG",@progbits,_ZL15flash_attn_tileILi512ELi512ELi4ELi4ELb0EEvPKcS1_S1_S1_S1_PKiPfP15HIP_vector_typeIfLj2EEffffjfiS5_IjLj3EEiiiiiiiiiiiliiliiiiil,comdat
	.globl	_ZL15flash_attn_tileILi512ELi512ELi4ELi4ELb0EEvPKcS1_S1_S1_S1_PKiPfP15HIP_vector_typeIfLj2EEffffjfiS5_IjLj3EEiiiiiiiiiiiliiliiiiil ; -- Begin function _ZL15flash_attn_tileILi512ELi512ELi4ELi4ELb0EEvPKcS1_S1_S1_S1_PKiPfP15HIP_vector_typeIfLj2EEffffjfiS5_IjLj3EEiiiiiiiiiiiliiliiiiil
	.p2align	8
	.type	_ZL15flash_attn_tileILi512ELi512ELi4ELi4ELb0EEvPKcS1_S1_S1_S1_PKiPfP15HIP_vector_typeIfLj2EEffffjfiS5_IjLj3EEiiiiiiiiiiiliiliiiiil,@function
_ZL15flash_attn_tileILi512ELi512ELi4ELi4ELb0EEvPKcS1_S1_S1_S1_PKiPfP15HIP_vector_typeIfLj2EEffffjfiS5_IjLj3EEiiiiiiiiiiiliiliiiiil: ; @_ZL15flash_attn_tileILi512ELi512ELi4ELi4ELb0EEvPKcS1_S1_S1_S1_PKiPfP15HIP_vector_typeIfLj2EEffffjfiS5_IjLj3EEiiiiiiiiiiiliiliiiiil
; %bb.0:
	s_load_dwordx4 s[24:27], s[4:5], 0x5c
	s_load_dwordx2 s[28:29], s[4:5], 0x80
	s_load_dwordx2 s[34:35], s[4:5], 0xb8
	s_mov_b64 s[30:31], 0
	s_waitcnt lgkmcnt(0)
	s_ashr_i32 s0, s27, 31
	s_lshr_b32 s0, s0, 30
	s_add_i32 s0, s27, s0
	s_ashr_i32 s0, s0, 2
	v_cvt_f32_u32_e32 v1, s0
	s_sub_i32 s1, 0, s0
	v_rcp_iflag_f32_e32 v1, v1
	v_mul_f32_e32 v1, 0x4f7ffffe, v1
	v_cvt_u32_f32_e32 v1, v1
	v_readfirstlane_b32 s2, v1
	s_mul_i32 s1, s1, s2
	s_mul_hi_u32 s1, s2, s1
	s_add_i32 s2, s2, s1
	s_mul_hi_u32 s1, s8, s2
	s_mul_i32 s2, s1, s0
	s_sub_i32 s2, s8, s2
	s_add_i32 s3, s1, 1
	s_sub_i32 s9, s2, s0
	s_cmp_ge_u32 s2, s0
	s_cselect_b32 s1, s3, s1
	s_cselect_b32 s2, s9, s2
	s_add_i32 s3, s1, 1
	s_cmp_ge_u32 s2, s0
	s_cselect_b32 s33, s3, s1
	s_abs_i32 s0, s29
	v_cvt_f32_u32_e32 v1, s0
	s_lshl_b32 s1, s8, 2
	s_mul_i32 s8, s33, s27
	s_xor_b32 s2, s27, s29
	v_rcp_iflag_f32_e32 v1, v1
	s_sub_i32 s9, 0, s0
	s_sub_i32 s29, s1, s8
	s_abs_i32 s3, s27
	v_mul_f32_e32 v1, 0x4f7ffffe, v1
	v_cvt_u32_f32_e32 v1, v1
	s_ashr_i32 s2, s2, 31
	v_readfirstlane_b32 s1, v1
	s_mul_i32 s9, s9, s1
	s_mul_hi_u32 s8, s1, s9
	s_add_i32 s1, s1, s8
	s_mul_hi_u32 s1, s3, s1
	s_mul_i32 s8, s1, s0
	s_sub_i32 s3, s3, s8
	s_add_i32 s9, s1, 1
	s_sub_i32 s8, s3, s0
	s_cmp_ge_u32 s3, s0
	s_cselect_b32 s1, s9, s1
	s_cselect_b32 s3, s8, s3
	s_add_i32 s8, s1, 1
	s_cmp_ge_u32 s3, s0
	s_cselect_b32 s0, s8, s1
	s_xor_b32 s0, s0, s2
	s_sub_i32 s37, s0, s2
	s_abs_i32 s36, s37
	v_cvt_f32_u32_e32 v1, s36
	s_load_dwordx16 s[8:23], s[4:5], 0x0
	v_rcp_iflag_f32_e32 v1, v1
	s_waitcnt lgkmcnt(0)
	s_cmp_eq_u64 s[14:15], 0
	v_mul_f32_e32 v1, 0x4f7ffffe, v1
	v_cvt_u32_f32_e32 v1, v1
	v_readfirstlane_b32 s38, v1
	s_cbranch_scc1 .LBB17_2
; %bb.1:
	s_abs_i32 s2, s34
	v_cvt_f32_u32_e32 v1, s2
	s_sub_i32 s31, 0, s2
	s_abs_i32 s30, s33
	s_ashr_i32 s3, s33, 31
	v_rcp_iflag_f32_e32 v1, v1
	s_load_dwordx2 s[0:1], s[4:5], 0xc8
	v_mul_f32_e32 v1, 0x4f7ffffe, v1
	v_cvt_u32_f32_e32 v1, v1
	v_readfirstlane_b32 s34, v1
	s_mul_i32 s31, s31, s34
	s_mul_hi_u32 s31, s34, s31
	s_add_i32 s34, s34, s31
	s_mul_hi_u32 s31, s30, s34
	s_mul_i32 s31, s31, s2
	s_sub_i32 s30, s30, s31
	s_sub_i32 s31, s30, s2
	s_cmp_ge_u32 s30, s2
	s_cselect_b32 s30, s31, s30
	s_sub_i32 s31, s30, s2
	s_cmp_ge_u32 s30, s2
	s_cselect_b32 s2, s31, s30
	s_xor_b32 s2, s2, s3
	s_sub_i32 s2, s2, s3
	s_ashr_i32 s3, s2, 31
	s_waitcnt lgkmcnt(0)
	s_mul_i32 s1, s2, s1
	s_mul_hi_u32 s30, s2, s0
	s_add_i32 s1, s30, s1
	s_mul_i32 s3, s3, s0
	s_add_i32 s1, s1, s3
	s_mul_i32 s2, s2, s0
	s_add_u32 s30, s14, s2
	s_addc_u32 s31, s15, s1
.LBB17_2:
	s_load_dwordx4 s[0:3], s[4:5], 0x70
	v_bfe_u32 v1, v0, 10, 10
	v_lshrrev_b32_e32 v2, 1, v1
	v_lshl_add_u32 v9, s6, 2, v2
	v_mul_hi_u32 v2, s24, v9
	s_waitcnt lgkmcnt(0)
	s_mul_i32 s2, s33, s2
	s_ashr_i32 s14, s2, 31
	s_mul_i32 s3, s29, s1
	s_add_u32 s2, s8, s2
	s_addc_u32 s8, s9, s14
	s_ashr_i32 s9, s3, 31
	v_add_u32_e32 v2, v9, v2
	s_add_u32 s14, s2, s3
	v_lshrrev_b32_e32 v2, s25, v2
	s_addc_u32 s8, s8, s9
	v_mul_lo_u32 v2, v2, s26
	s_ashr_i32 s15, s0, 31
	v_mov_b32_e32 v4, s0
	v_sub_u32_e32 v2, v9, v2
	v_alignbit_b32 v4, s15, v4, 2
	v_mad_u64_u32 v[4:5], s[2:3], v4, v2, 0
	v_mov_b32_e32 v6, v5
	s_lshr_b32 s0, s15, 2
	v_mad_u64_u32 v[6:7], s[2:3], s0, v2, v[6:7]
	v_mov_b32_e32 v5, v6
	v_lshlrev_b64 v[4:5], 2, v[4:5]
	v_and_b32_e32 v8, 0x3ff, v0
	v_mov_b32_e32 v0, s8
	v_add_co_u32_e32 v4, vcc, s14, v4
	v_addc_co_u32_e32 v0, vcc, v0, v5, vcc
	v_lshlrev_b32_e32 v5, 4, v8
	v_lshlrev_b32_e32 v3, 1, v1
	s_ashr_i32 s9, s1, 31
	v_add_co_u32_e32 v20, vcc, v4, v5
	v_mov_b32_e32 v4, s1
	v_and_b32_e32 v21, 2, v3
	s_lshr_b32 s2, s9, 2
	v_alignbit_b32 v26, s9, v4, 2
	v_addc_co_u32_e32 v28, vcc, 0, v0, vcc
	v_mul_lo_u32 v0, s2, v21
	v_mad_u64_u32 v[4:5], s[0:1], v26, v21, 0
	v_or_b32_e32 v5, v5, v0
	v_lshlrev_b64 v[4:5], 2, v[4:5]
	v_add_co_u32_e32 v18, vcc, v20, v4
	v_addc_co_u32_e32 v19, vcc, v28, v5, vcc
	global_load_dwordx4 v[4:7], v[18:19], off
	global_load_dwordx4 v[10:13], v[18:19], off offset:512
	global_load_dwordx4 v[14:17], v[18:19], off offset:1024
	;; [unrolled: 1-line block ×3, first 2 shown]
	v_or_b32_e32 v3, 1, v3
	v_and_b32_e32 v27, 3, v3
	v_mad_u64_u32 v[18:19], s[0:1], v26, v27, 0
	v_mov_b32_e32 v0, v19
	v_mad_u64_u32 v[26:27], s[0:1], s2, v27, v[0:1]
	v_mov_b32_e32 v19, v26
	v_lshlrev_b64 v[18:19], 2, v[18:19]
	v_add_co_u32_e32 v18, vcc, v20, v18
	v_addc_co_u32_e32 v19, vcc, v28, v19, vcc
	global_load_dwordx4 v[26:29], v[18:19], off
	global_load_dwordx4 v[30:33], v[18:19], off offset:512
	global_load_dwordx4 v[34:37], v[18:19], off offset:1024
	;; [unrolled: 1-line block ×3, first 2 shown]
	s_load_dword s0, s[4:5], 0x40
	s_mov_b32 s1, 0
	v_lshlrev_b32_e32 v18, 3, v8
	v_lshl_or_b32 v20, v1, 11, v18
	v_lshlrev_b32_e32 v0, 1, v8
	v_lshlrev_b32_e32 v3, 8, v3
	v_add_lshl_u32 v0, v3, v0, 2
	s_cmp_eq_u64 s[18:19], 0
	s_waitcnt vmcnt(7) lgkmcnt(0)
	v_pk_mul_f32 v[4:5], v[4:5], s[0:1] op_sel_hi:[1,0]
	v_pk_mul_f32 v[6:7], v[6:7], s[0:1] op_sel_hi:[1,0]
	s_waitcnt vmcnt(6)
	v_pk_mul_f32 v[10:11], v[10:11], s[0:1] op_sel_hi:[1,0]
	v_pk_mul_f32 v[12:13], v[12:13], s[0:1] op_sel_hi:[1,0]
	s_waitcnt vmcnt(4)
	v_pk_mul_f32 v[18:19], v[22:23], s[0:1] op_sel_hi:[1,0]
	v_pk_mul_f32 v[22:23], v[24:25], s[0:1] op_sel_hi:[1,0]
	v_cvt_f16_f32_e32 v24, v5
	v_cvt_f16_f32_e32 v4, v4
	;; [unrolled: 1-line block ×8, first 2 shown]
	v_pk_mul_f32 v[14:15], v[14:15], s[0:1] op_sel_hi:[1,0]
	v_pk_mul_f32 v[16:17], v[16:17], s[0:1] op_sel_hi:[1,0]
	v_pack_b32_f16 v5, v6, v5
	v_pack_b32_f16 v4, v4, v24
	;; [unrolled: 1-line block ×4, first 2 shown]
	v_cvt_f16_f32_e32 v13, v15
	v_cvt_f16_f32_e32 v14, v14
	v_cvt_f16_f32_e32 v15, v17
	v_cvt_f16_f32_e32 v16, v16
	v_cvt_f16_f32_e32 v17, v19
	v_cvt_f16_f32_e32 v19, v23
	ds_write2_b64 v20, v[4:5], v[6:7] offset1:32
	v_cvt_f16_f32_e32 v6, v22
	v_cvt_f16_f32_e32 v10, v18
	v_pack_b32_f16 v5, v16, v15
	v_pack_b32_f16 v4, v14, v13
	;; [unrolled: 1-line block ×4, first 2 shown]
	ds_write2_b64 v20, v[4:5], v[6:7] offset0:64 offset1:96
	s_waitcnt vmcnt(3)
	v_pk_mul_f32 v[4:5], v[26:27], s[0:1] op_sel_hi:[1,0]
	v_cvt_f16_f32_e32 v10, v5
	v_cvt_f16_f32_e32 v11, v4
	v_pk_mul_f32 v[4:5], v[28:29], s[0:1] op_sel_hi:[1,0]
	v_cvt_f16_f32_e32 v12, v5
	v_cvt_f16_f32_e32 v13, v4
	s_waitcnt vmcnt(2)
	v_pk_mul_f32 v[4:5], v[30:31], s[0:1] op_sel_hi:[1,0]
	v_pk_mul_f32 v[6:7], v[32:33], s[0:1] op_sel_hi:[1,0]
	v_cvt_f16_f32_e32 v3, v5
	v_cvt_f16_f32_e32 v7, v7
	;; [unrolled: 1-line block ×4, first 2 shown]
	v_pack_b32_f16 v5, v13, v12
	v_pack_b32_f16 v4, v11, v10
	;; [unrolled: 1-line block ×4, first 2 shown]
	ds_write2_b64 v0, v[4:5], v[6:7] offset1:32
	s_waitcnt vmcnt(1)
	v_pk_mul_f32 v[4:5], v[34:35], s[0:1] op_sel_hi:[1,0]
	v_cvt_f16_f32_e32 v3, v5
	v_cvt_f16_f32_e32 v10, v4
	v_pk_mul_f32 v[4:5], v[36:37], s[0:1] op_sel_hi:[1,0]
	v_cvt_f16_f32_e32 v11, v5
	v_cvt_f16_f32_e32 v12, v4
	s_waitcnt vmcnt(0)
	v_pk_mul_f32 v[4:5], v[38:39], s[0:1] op_sel_hi:[1,0]
	v_pk_mul_f32 v[6:7], v[40:41], s[0:1] op_sel_hi:[1,0]
	v_cvt_f16_f32_e32 v13, v5
	v_cvt_f16_f32_e32 v7, v7
	v_cvt_f16_f32_e32 v6, v6
	v_cvt_f16_f32_e32 v14, v4
	v_pack_b32_f16 v5, v12, v11
	v_pack_b32_f16 v4, v10, v3
	;; [unrolled: 1-line block ×4, first 2 shown]
	ds_write2_b64 v0, v[4:5], v[6:7] offset0:64 offset1:96
	s_waitcnt lgkmcnt(0)
	s_barrier
	s_cbranch_scc1 .LBB17_4
; %bb.3:
	s_load_dword s0, s[4:5], 0xd0
	s_waitcnt lgkmcnt(0)
	s_mul_i32 s0, s0, s33
	s_add_i32 s0, s0, s6
	s_lshl_b64 s[0:1], s[0:1], 2
	s_add_u32 s0, s18, s0
	s_addc_u32 s1, s19, s1
	s_load_dword s28, s[0:1], 0x0
.LBB17_4:
	s_lshl_b32 s24, s7, 6
	v_lshlrev_b32_e32 v23, 2, v8
	s_waitcnt lgkmcnt(0)
	s_cmp_lt_i32 s24, s28
	v_mbcnt_lo_u32_b32 v0, -1, 0
	s_cbranch_scc1 .LBB17_6
; %bb.5:
	v_mbcnt_hi_u32_b32 v13, -1, v0
	v_and_b32_e32 v3, 0x60, v13
	s_mov_b32 s0, 0xfeffffff
	s_mov_b32 s6, 0
	v_add_u32_e32 v25, 32, v3
	v_xor_b32_e32 v56, 16, v13
	v_xor_b32_e32 v33, 8, v13
	;; [unrolled: 1-line block ×5, first 2 shown]
	s_mov_b32 s1, s0
	s_mov_b64 s[2:3], 0
	s_branch .LBB17_7
.LBB17_6:
	s_mov_b64 s[2:3], -1
                                        ; implicit-def: $sgpr6
                                        ; implicit-def: $sgpr0_sgpr1
                                        ; implicit-def: $vgpr13
                                        ; implicit-def: $vgpr25
                                        ; implicit-def: $vgpr56
                                        ; implicit-def: $vgpr33
                                        ; implicit-def: $vgpr31
                                        ; implicit-def: $vgpr29
                                        ; implicit-def: $vgpr27
.LBB17_7:
	s_andn2_b64 vcc, exec, s[2:3]
	v_mov_b32_e32 v11, s6
	v_mov_b32_e32 v82, s6
	v_pk_mov_b32 v[34:35], s[0:1], s[0:1] op_sel:[0,1]
	v_mov_b32_e32 v80, s6
	v_mov_b32_e32 v10, s6
	;; [unrolled: 1-line block ×16, first 2 shown]
	s_cbranch_vccnz .LBB17_10
; %bb.8:
	s_sub_i32 s0, 0, s36
	s_mul_i32 s0, s0, s38
	s_mul_hi_u32 s0, s38, s0
	s_add_i32 s38, s38, s0
	s_load_dwordx2 s[8:9], s[4:5], 0x8c
	s_load_dwordx4 s[0:3], s[4:5], 0x98
	s_abs_i32 s6, s29
	s_ashr_i32 s19, s29, 31
	s_ashr_i32 s37, s37, 31
	s_waitcnt lgkmcnt(0)
	s_ashr_i32 s34, s8, 2
	s_ashr_i32 s25, s2, 2
	;; [unrolled: 1-line block ×4, first 2 shown]
	s_mul_i32 s1, s33, s1
	s_mul_hi_u32 s35, s33, s0
	s_add_i32 s1, s35, s1
	s_mul_i32 s35, s8, s0
	s_add_i32 s1, s1, s35
	s_mul_i32 s0, s33, s0
	s_mul_hi_u32 s18, s6, s38
	s_add_u32 s0, s10, s0
	s_addc_u32 s1, s11, s1
	s_mul_i32 s11, s18, s36
	s_sub_i32 s6, s6, s11
	s_xor_b32 s10, s19, s37
	s_add_i32 s11, s18, 1
	s_sub_i32 s19, s6, s36
	s_cmp_ge_u32 s6, s36
	s_cselect_b32 s11, s11, s18
	s_cselect_b32 s6, s19, s6
	s_add_i32 s18, s11, 1
	s_cmp_ge_u32 s6, s36
	s_cselect_b32 s6, s18, s11
	s_load_dwordx2 s[14:15], s[4:5], 0xa8
	s_xor_b32 s6, s6, s10
	s_sub_i32 s6, s6, s10
	s_mul_i32 s9, s6, s9
	s_ashr_i32 s10, s9, 31
	s_add_u32 s35, s0, s9
	s_addc_u32 s36, s1, s10
	s_waitcnt lgkmcnt(0)
	s_mul_i32 s0, s33, s15
	s_mul_hi_u32 s1, s33, s14
	s_add_i32 s0, s1, s0
	s_mul_i32 s8, s8, s14
	s_add_i32 s0, s0, s8
	s_mul_i32 s1, s33, s14
	s_add_u32 s1, s12, s1
	s_mul_i32 s6, s6, s3
	s_addc_u32 s0, s13, s0
	s_ashr_i32 s3, s6, 31
	s_add_u32 s6, s1, s6
	v_lshrrev_b32_e32 v3, 3, v8
	v_and_b32_e32 v4, 28, v23
	s_addc_u32 s3, s0, s3
	v_lshl_add_u32 v3, v1, 2, v3
	v_lshlrev_b32_e32 v5, 2, v4
	s_movk_i32 s0, 0x90
	v_mad_u32_u24 v5, v3, s0, v5
	v_mad_u64_u32 v[12:13], s[0:1], v2, s2, v[8:9]
	v_mov_b32_e32 v2, 0x6400
	v_lshl_add_u32 v61, v1, 8, v2
	v_mul_lo_u32 v2, s25, v1
	v_mul_lo_u32 v6, s34, v3
	v_ashrrev_i32_e32 v3, 31, v2
	v_add_u32_e32 v57, 0x4000, v5
	v_add_u32_e32 v58, 0x5200, v5
	v_lshlrev_b32_e32 v5, 2, v23
	v_lshlrev_b64 v[2:3], 2, v[2:3]
	v_lshlrev_b32_e32 v60, 11, v1
	v_lshl_add_u32 v13, v1, 10, v5
	v_mov_b32_e32 v1, s3
	v_add_co_u32_e32 v2, vcc, s6, v2
	v_lshl_add_u32 v10, s34, 5, v6
	v_add_u32_e32 v62, 0x4000, v13
	v_addc_co_u32_e32 v1, vcc, v1, v3, vcc
	v_add_u32_e32 v63, 0x4200, v13
	v_mov_b32_e32 v3, 0x4000
	v_mbcnt_hi_u32_b32 v13, -1, v0
	v_mov_b32_e32 v74, 0
	v_ashrrev_i32_e32 v7, 31, v6
	v_ashrrev_i32_e32 v11, 31, v10
	v_lshl_or_b32 v64, v8, 3, v3
	s_add_u32 s18, s4, 0xd0
	v_add_co_u32_e32 v65, vcc, v2, v5
	v_mov_b32_e32 v18, 0xfeffffff
	v_and_b32_e32 v0, 0x60, v13
	v_mul_u32_u24_e32 v59, 0x90, v8
	s_addc_u32 s19, s5, 0
	v_addc_co_u32_e32 v66, vcc, 0, v1, vcc
	v_lshlrev_b64 v[14:15], 2, v[6:7]
	v_lshlrev_b32_e32 v67, 2, v4
	v_lshlrev_b64 v[16:17], 2, v[10:11]
	v_add_u32_e32 v25, 32, v0
	v_xor_b32_e32 v56, 16, v13
	v_xor_b32_e32 v33, 8, v13
	v_xor_b32_e32 v31, 4, v13
	v_xor_b32_e32 v29, 2, v13
	v_xor_b32_e32 v27, 1, v13
	v_mov_b32_e32 v68, s31
	s_mov_b32 s6, 0x40051340
	s_mov_b32 s31, 0x3fb8aa3b
	;; [unrolled: 1-line block ×4, first 2 shown]
	v_mov_b32_e32 v69, 0x7f800000
	v_add_u32_e32 v70, v61, v23
	v_add_u32_e32 v71, 0x800, v64
	v_add_u32_e32 v72, 0x1000, v64
	v_add_u32_e32 v73, 0x1800, v64
	v_mov_b32_e32 v80, 0
	v_mov_b32_e32 v20, 0
	;; [unrolled: 1-line block ×18, first 2 shown]
.LBB17_9:                               ; =>This Inner Loop Header: Depth=1
	v_cmp_lt_i32_e32 vcc, v56, v25
	v_cndmask_b32_e32 v1, v13, v56, vcc
	v_cmp_lt_i32_e32 vcc, v33, v25
	v_add_u32_e32 v0, s24, v12
	v_cndmask_b32_e32 v2, v13, v33, vcc
	v_cmp_lt_i32_e32 vcc, v31, v25
	s_mul_hi_i32 s1, s24, s34
	s_mul_i32 s0, s24, s34
	v_cndmask_b32_e32 v3, v13, v31, vcc
	v_cmp_lt_i32_e32 vcc, v29, v25
	v_lshlrev_b32_e32 v87, 2, v1
	v_ashrrev_i32_e32 v1, 31, v0
	v_cndmask_b32_e32 v4, v13, v29, vcc
	v_cmp_lt_i32_e32 vcc, v27, v25
	s_lshl_b64 s[0:1], s[0:1], 2
	v_lshlrev_b64 v[0:1], 1, v[0:1]
	v_cndmask_b32_e32 v5, v13, v27, vcc
	s_mul_hi_i32 s9, s24, s25
	s_mul_i32 s8, s24, s25
	s_add_u32 s2, s35, s0
	v_add_co_u32_e32 v0, vcc, s30, v0
	s_addc_u32 s3, s36, s1
	v_addc_co_u32_e32 v1, vcc, v68, v1, vcc
	s_lshl_b64 s[0:1], s[8:9], 2
	v_lshlrev_b32_e32 v85, 2, v3
	v_lshlrev_b32_e32 v84, 2, v4
	;; [unrolled: 1-line block ×3, first 2 shown]
	v_mov_b32_e32 v3, s3
	v_add_co_u32_e32 v4, vcc, s2, v16
	v_mov_b32_e32 v5, s1
	v_add_co_u32_e64 v52, s[0:1], s0, v65
	v_lshlrev_b32_e32 v86, 2, v2
	v_mov_b32_e32 v2, s3
	v_add_co_u32_e64 v6, s[2:3], s2, v14
	v_addc_co_u32_e32 v3, vcc, v3, v17, vcc
	v_addc_co_u32_e64 v53, s[0:1], v66, v5, s[0:1]
	v_addc_co_u32_e64 v7, s[2:3], v2, v15, s[2:3]
	v_add_co_u32_e32 v2, vcc, v4, v67
	v_add_co_u32_e64 v4, s[0:1], v6, v67
	v_addc_co_u32_e64 v5, s[0:1], 0, v7, s[0:1]
	v_addc_co_u32_e32 v3, vcc, 0, v3, vcc
	global_load_dwordx4 v[88:91], v[4:5], off
	global_load_dwordx4 v[92:95], v[2:3], off
	v_mov_b32_e32 v34, 0
	v_mov_b32_e32 v36, 0
	v_mov_b32_e32 v35, 0
	v_mov_b32_e32 v37, 0
	s_or_b32 s8, s24, 8
	s_or_b32 s9, s24, 16
	;; [unrolled: 1-line block ×7, first 2 shown]
	s_mul_hi_i32 s15, s8, s25
	s_mul_i32 s14, s8, s25
	s_mul_hi_i32 s41, s9, s25
	s_mul_i32 s40, s9, s25
	;; [unrolled: 2-line block ×7, first 2 shown]
	s_lshl_b64 s[2:3], s[14:15], 2
	s_lshl_b64 s[14:15], s[40:41], 2
	;; [unrolled: 1-line block ×6, first 2 shown]
	v_mov_b32_e32 v6, s3
	v_add_co_u32_e32 v50, vcc, s2, v65
	v_mov_b32_e32 v7, s15
	v_add_co_u32_e64 v48, s[0:1], s14, v65
	s_waitcnt vmcnt(1)
	ds_write_b128 v57, v[88:91]
	s_waitcnt vmcnt(0)
	ds_write_b128 v58, v[92:95]
	s_waitcnt lgkmcnt(0)
	s_barrier
	ds_read_b128 v[88:91], v60
	ds_read_b128 v[92:95], v59 offset:16384
	ds_read_b128 v[96:99], v59 offset:20992
	ds_read_b128 v[100:103], v60 offset:1024
	s_waitcnt lgkmcnt(2)
	;;#ASMSTART
	v_dot2_f32_f16 v34, v92, v88, v34
	;;#ASMEND
	;;#ASMSTART
	v_dot2_f32_f16 v34, v93, v89, v34
	;;#ASMEND
	;;#ASMSTART
	v_dot2_f32_f16 v34, v94, v90, v34
	;;#ASMEND
	;;#ASMSTART
	v_dot2_f32_f16 v34, v95, v91, v34
	;;#ASMEND
	s_waitcnt lgkmcnt(0)
	;;#ASMSTART
	v_dot2_f32_f16 v36, v92, v100, v36
	;;#ASMEND
	;;#ASMSTART
	v_dot2_f32_f16 v36, v93, v101, v36
	;;#ASMEND
	;;#ASMSTART
	v_dot2_f32_f16 v36, v94, v102, v36
	;;#ASMEND
	;;#ASMSTART
	v_dot2_f32_f16 v36, v95, v103, v36
	;;#ASMEND
	;;#ASMSTART
	v_dot2_f32_f16 v35, v96, v88, v35
	;;#ASMEND
	;;#ASMSTART
	v_dot2_f32_f16 v35, v97, v89, v35
	;;#ASMEND
	;;#ASMSTART
	v_dot2_f32_f16 v35, v98, v90, v35
	;;#ASMEND
	;;#ASMSTART
	v_dot2_f32_f16 v35, v99, v91, v35
	;;#ASMEND
	;;#ASMSTART
	v_dot2_f32_f16 v37, v96, v100, v37
	;;#ASMEND
	;;#ASMSTART
	v_dot2_f32_f16 v37, v97, v101, v37
	;;#ASMEND
	;;#ASMSTART
	v_dot2_f32_f16 v37, v98, v102, v37
	;;#ASMEND
	;;#ASMSTART
	v_dot2_f32_f16 v37, v99, v103, v37
	;;#ASMEND
	ds_read_b128 v[88:91], v60 offset:16
	ds_read_b128 v[92:95], v59 offset:16400
	ds_read_b128 v[96:99], v59 offset:21008
	ds_read_b128 v[100:103], v60 offset:1040
	s_waitcnt lgkmcnt(2)
	;;#ASMSTART
	v_dot2_f32_f16 v34, v92, v88, v34
	;;#ASMEND
	;;#ASMSTART
	v_dot2_f32_f16 v34, v93, v89, v34
	;;#ASMEND
	;;#ASMSTART
	v_dot2_f32_f16 v34, v94, v90, v34
	;;#ASMEND
	;;#ASMSTART
	v_dot2_f32_f16 v34, v95, v91, v34
	;;#ASMEND
	s_waitcnt lgkmcnt(0)
	;;#ASMSTART
	v_dot2_f32_f16 v36, v92, v100, v36
	;;#ASMEND
	;;#ASMSTART
	v_dot2_f32_f16 v36, v93, v101, v36
	;;#ASMEND
	;;#ASMSTART
	v_dot2_f32_f16 v36, v94, v102, v36
	;;#ASMEND
	;;#ASMSTART
	v_dot2_f32_f16 v36, v95, v103, v36
	;;#ASMEND
	;;#ASMSTART
	v_dot2_f32_f16 v35, v96, v88, v35
	;;#ASMEND
	;;#ASMSTART
	v_dot2_f32_f16 v35, v97, v89, v35
	;;#ASMEND
	;;#ASMSTART
	v_dot2_f32_f16 v35, v98, v90, v35
	;;#ASMEND
	;;#ASMSTART
	v_dot2_f32_f16 v35, v99, v91, v35
	;;#ASMEND
	;;#ASMSTART
	v_dot2_f32_f16 v37, v96, v100, v37
	;;#ASMEND
	;;#ASMSTART
	v_dot2_f32_f16 v37, v97, v101, v37
	;;#ASMEND
	;;#ASMSTART
	v_dot2_f32_f16 v37, v98, v102, v37
	;;#ASMEND
	;;#ASMSTART
	v_dot2_f32_f16 v37, v99, v103, v37
	;;#ASMEND
	ds_read_b128 v[88:91], v60 offset:32
	;; [unrolled: 54-line block ×7, first 2 shown]
	ds_read_b128 v[92:95], v59 offset:16496
	ds_read_b128 v[96:99], v59 offset:21104
	;; [unrolled: 1-line block ×3, first 2 shown]
	s_waitcnt lgkmcnt(2)
	;;#ASMSTART
	v_dot2_f32_f16 v34, v92, v88, v34
	;;#ASMEND
	;;#ASMSTART
	v_dot2_f32_f16 v34, v93, v89, v34
	;;#ASMEND
	;; [unrolled: 3-line block ×4, first 2 shown]
	s_waitcnt lgkmcnt(0)
	;;#ASMSTART
	v_dot2_f32_f16 v36, v92, v100, v36
	;;#ASMEND
	;;#ASMSTART
	v_dot2_f32_f16 v36, v93, v101, v36
	;;#ASMEND
	;;#ASMSTART
	v_dot2_f32_f16 v36, v94, v102, v36
	;;#ASMEND
	;;#ASMSTART
	v_dot2_f32_f16 v36, v95, v103, v36
	;;#ASMEND
	;;#ASMSTART
	v_dot2_f32_f16 v35, v96, v88, v35
	;;#ASMEND
	;;#ASMSTART
	v_dot2_f32_f16 v35, v97, v89, v35
	;;#ASMEND
	;;#ASMSTART
	v_dot2_f32_f16 v35, v98, v90, v35
	;;#ASMEND
	;;#ASMSTART
	v_dot2_f32_f16 v35, v99, v91, v35
	;;#ASMEND
	;;#ASMSTART
	v_dot2_f32_f16 v37, v96, v100, v37
	;;#ASMEND
	;;#ASMSTART
	v_dot2_f32_f16 v37, v97, v101, v37
	;;#ASMEND
	;;#ASMSTART
	v_dot2_f32_f16 v37, v98, v102, v37
	;;#ASMEND
	;;#ASMSTART
	v_dot2_f32_f16 v37, v99, v103, v37
	;;#ASMEND
	s_barrier
	global_load_dwordx4 v[88:91], v[4:5], off offset:128
	global_load_dwordx4 v[92:95], v[2:3], off offset:128
	s_waitcnt vmcnt(1)
	ds_write_b128 v57, v[88:91]
	s_waitcnt vmcnt(0)
	ds_write_b128 v58, v[92:95]
	s_waitcnt lgkmcnt(0)
	s_barrier
	ds_read_b128 v[88:91], v60 offset:128
	ds_read_b128 v[92:95], v59 offset:16384
	ds_read_b128 v[96:99], v59 offset:20992
	ds_read_b128 v[100:103], v60 offset:1152
	s_waitcnt lgkmcnt(2)
	;;#ASMSTART
	v_dot2_f32_f16 v34, v92, v88, v34
	;;#ASMEND
	;;#ASMSTART
	v_dot2_f32_f16 v34, v93, v89, v34
	;;#ASMEND
	;;#ASMSTART
	v_dot2_f32_f16 v34, v94, v90, v34
	;;#ASMEND
	;;#ASMSTART
	v_dot2_f32_f16 v34, v95, v91, v34
	;;#ASMEND
	s_waitcnt lgkmcnt(0)
	;;#ASMSTART
	v_dot2_f32_f16 v36, v92, v100, v36
	;;#ASMEND
	;;#ASMSTART
	v_dot2_f32_f16 v36, v93, v101, v36
	;;#ASMEND
	;;#ASMSTART
	v_dot2_f32_f16 v36, v94, v102, v36
	;;#ASMEND
	;;#ASMSTART
	v_dot2_f32_f16 v36, v95, v103, v36
	;;#ASMEND
	;;#ASMSTART
	v_dot2_f32_f16 v35, v96, v88, v35
	;;#ASMEND
	;;#ASMSTART
	v_dot2_f32_f16 v35, v97, v89, v35
	;;#ASMEND
	;;#ASMSTART
	v_dot2_f32_f16 v35, v98, v90, v35
	;;#ASMEND
	;;#ASMSTART
	v_dot2_f32_f16 v35, v99, v91, v35
	;;#ASMEND
	;;#ASMSTART
	v_dot2_f32_f16 v37, v96, v100, v37
	;;#ASMEND
	;;#ASMSTART
	v_dot2_f32_f16 v37, v97, v101, v37
	;;#ASMEND
	;;#ASMSTART
	v_dot2_f32_f16 v37, v98, v102, v37
	;;#ASMEND
	;;#ASMSTART
	v_dot2_f32_f16 v37, v99, v103, v37
	;;#ASMEND
	ds_read_b128 v[88:91], v60 offset:144
	ds_read_b128 v[92:95], v59 offset:16400
	ds_read_b128 v[96:99], v59 offset:21008
	ds_read_b128 v[100:103], v60 offset:1168
	s_waitcnt lgkmcnt(2)
	;;#ASMSTART
	v_dot2_f32_f16 v34, v92, v88, v34
	;;#ASMEND
	;;#ASMSTART
	v_dot2_f32_f16 v34, v93, v89, v34
	;;#ASMEND
	;;#ASMSTART
	v_dot2_f32_f16 v34, v94, v90, v34
	;;#ASMEND
	;;#ASMSTART
	v_dot2_f32_f16 v34, v95, v91, v34
	;;#ASMEND
	s_waitcnt lgkmcnt(0)
	;;#ASMSTART
	v_dot2_f32_f16 v36, v92, v100, v36
	;;#ASMEND
	;;#ASMSTART
	v_dot2_f32_f16 v36, v93, v101, v36
	;;#ASMEND
	;;#ASMSTART
	v_dot2_f32_f16 v36, v94, v102, v36
	;;#ASMEND
	;;#ASMSTART
	v_dot2_f32_f16 v36, v95, v103, v36
	;;#ASMEND
	;;#ASMSTART
	v_dot2_f32_f16 v35, v96, v88, v35
	;;#ASMEND
	;;#ASMSTART
	v_dot2_f32_f16 v35, v97, v89, v35
	;;#ASMEND
	;;#ASMSTART
	v_dot2_f32_f16 v35, v98, v90, v35
	;;#ASMEND
	;;#ASMSTART
	v_dot2_f32_f16 v35, v99, v91, v35
	;;#ASMEND
	;;#ASMSTART
	v_dot2_f32_f16 v37, v96, v100, v37
	;;#ASMEND
	;;#ASMSTART
	v_dot2_f32_f16 v37, v97, v101, v37
	;;#ASMEND
	;;#ASMSTART
	v_dot2_f32_f16 v37, v98, v102, v37
	;;#ASMEND
	;;#ASMSTART
	v_dot2_f32_f16 v37, v99, v103, v37
	;;#ASMEND
	;; [unrolled: 54-line block ×8, first 2 shown]
	s_barrier
	global_load_dwordx4 v[88:91], v[4:5], off offset:256
	global_load_dwordx4 v[92:95], v[2:3], off offset:256
	s_waitcnt vmcnt(1)
	ds_write_b128 v57, v[88:91]
	s_waitcnt vmcnt(0)
	ds_write_b128 v58, v[92:95]
	s_waitcnt lgkmcnt(0)
	s_barrier
	ds_read_b128 v[88:91], v60 offset:256
	ds_read_b128 v[92:95], v59 offset:16384
	ds_read_b128 v[96:99], v59 offset:20992
	ds_read_b128 v[100:103], v60 offset:1280
	s_waitcnt lgkmcnt(2)
	;;#ASMSTART
	v_dot2_f32_f16 v34, v92, v88, v34
	;;#ASMEND
	;;#ASMSTART
	v_dot2_f32_f16 v34, v93, v89, v34
	;;#ASMEND
	;;#ASMSTART
	v_dot2_f32_f16 v34, v94, v90, v34
	;;#ASMEND
	;;#ASMSTART
	v_dot2_f32_f16 v34, v95, v91, v34
	;;#ASMEND
	s_waitcnt lgkmcnt(0)
	;;#ASMSTART
	v_dot2_f32_f16 v36, v92, v100, v36
	;;#ASMEND
	;;#ASMSTART
	v_dot2_f32_f16 v36, v93, v101, v36
	;;#ASMEND
	;;#ASMSTART
	v_dot2_f32_f16 v36, v94, v102, v36
	;;#ASMEND
	;;#ASMSTART
	v_dot2_f32_f16 v36, v95, v103, v36
	;;#ASMEND
	;;#ASMSTART
	v_dot2_f32_f16 v35, v96, v88, v35
	;;#ASMEND
	;;#ASMSTART
	v_dot2_f32_f16 v35, v97, v89, v35
	;;#ASMEND
	;;#ASMSTART
	v_dot2_f32_f16 v35, v98, v90, v35
	;;#ASMEND
	;;#ASMSTART
	v_dot2_f32_f16 v35, v99, v91, v35
	;;#ASMEND
	;;#ASMSTART
	v_dot2_f32_f16 v37, v96, v100, v37
	;;#ASMEND
	;;#ASMSTART
	v_dot2_f32_f16 v37, v97, v101, v37
	;;#ASMEND
	;;#ASMSTART
	v_dot2_f32_f16 v37, v98, v102, v37
	;;#ASMEND
	;;#ASMSTART
	v_dot2_f32_f16 v37, v99, v103, v37
	;;#ASMEND
	ds_read_b128 v[88:91], v60 offset:272
	ds_read_b128 v[92:95], v59 offset:16400
	ds_read_b128 v[96:99], v59 offset:21008
	ds_read_b128 v[100:103], v60 offset:1296
	s_waitcnt lgkmcnt(2)
	;;#ASMSTART
	v_dot2_f32_f16 v34, v92, v88, v34
	;;#ASMEND
	;;#ASMSTART
	v_dot2_f32_f16 v34, v93, v89, v34
	;;#ASMEND
	;;#ASMSTART
	v_dot2_f32_f16 v34, v94, v90, v34
	;;#ASMEND
	;;#ASMSTART
	v_dot2_f32_f16 v34, v95, v91, v34
	;;#ASMEND
	s_waitcnt lgkmcnt(0)
	;;#ASMSTART
	v_dot2_f32_f16 v36, v92, v100, v36
	;;#ASMEND
	;;#ASMSTART
	v_dot2_f32_f16 v36, v93, v101, v36
	;;#ASMEND
	;;#ASMSTART
	v_dot2_f32_f16 v36, v94, v102, v36
	;;#ASMEND
	;;#ASMSTART
	v_dot2_f32_f16 v36, v95, v103, v36
	;;#ASMEND
	;;#ASMSTART
	v_dot2_f32_f16 v35, v96, v88, v35
	;;#ASMEND
	;;#ASMSTART
	v_dot2_f32_f16 v35, v97, v89, v35
	;;#ASMEND
	;;#ASMSTART
	v_dot2_f32_f16 v35, v98, v90, v35
	;;#ASMEND
	;;#ASMSTART
	v_dot2_f32_f16 v35, v99, v91, v35
	;;#ASMEND
	;;#ASMSTART
	v_dot2_f32_f16 v37, v96, v100, v37
	;;#ASMEND
	;;#ASMSTART
	v_dot2_f32_f16 v37, v97, v101, v37
	;;#ASMEND
	;;#ASMSTART
	v_dot2_f32_f16 v37, v98, v102, v37
	;;#ASMEND
	;;#ASMSTART
	v_dot2_f32_f16 v37, v99, v103, v37
	;;#ASMEND
	;; [unrolled: 54-line block ×8, first 2 shown]
	s_barrier
	global_load_dwordx4 v[88:91], v[4:5], off offset:384
	global_load_dwordx4 v[92:95], v[2:3], off offset:384
	s_waitcnt vmcnt(1)
	ds_write_b128 v57, v[88:91]
	s_waitcnt vmcnt(0)
	ds_write_b128 v58, v[92:95]
	s_waitcnt lgkmcnt(0)
	s_barrier
	ds_read_b128 v[88:91], v60 offset:384
	ds_read_b128 v[92:95], v59 offset:16384
	ds_read_b128 v[96:99], v59 offset:20992
	ds_read_b128 v[100:103], v60 offset:1408
	s_waitcnt lgkmcnt(2)
	;;#ASMSTART
	v_dot2_f32_f16 v34, v92, v88, v34
	;;#ASMEND
	;;#ASMSTART
	v_dot2_f32_f16 v34, v93, v89, v34
	;;#ASMEND
	;;#ASMSTART
	v_dot2_f32_f16 v34, v94, v90, v34
	;;#ASMEND
	;;#ASMSTART
	v_dot2_f32_f16 v34, v95, v91, v34
	;;#ASMEND
	s_waitcnt lgkmcnt(0)
	;;#ASMSTART
	v_dot2_f32_f16 v36, v92, v100, v36
	;;#ASMEND
	;;#ASMSTART
	v_dot2_f32_f16 v36, v93, v101, v36
	;;#ASMEND
	;;#ASMSTART
	v_dot2_f32_f16 v36, v94, v102, v36
	;;#ASMEND
	;;#ASMSTART
	v_dot2_f32_f16 v36, v95, v103, v36
	;;#ASMEND
	;;#ASMSTART
	v_dot2_f32_f16 v35, v96, v88, v35
	;;#ASMEND
	;;#ASMSTART
	v_dot2_f32_f16 v35, v97, v89, v35
	;;#ASMEND
	;;#ASMSTART
	v_dot2_f32_f16 v35, v98, v90, v35
	;;#ASMEND
	;;#ASMSTART
	v_dot2_f32_f16 v35, v99, v91, v35
	;;#ASMEND
	;;#ASMSTART
	v_dot2_f32_f16 v37, v96, v100, v37
	;;#ASMEND
	;;#ASMSTART
	v_dot2_f32_f16 v37, v97, v101, v37
	;;#ASMEND
	;;#ASMSTART
	v_dot2_f32_f16 v37, v98, v102, v37
	;;#ASMEND
	;;#ASMSTART
	v_dot2_f32_f16 v37, v99, v103, v37
	;;#ASMEND
	ds_read_b128 v[88:91], v60 offset:400
	ds_read_b128 v[92:95], v59 offset:16400
	ds_read_b128 v[96:99], v59 offset:21008
	ds_read_b128 v[100:103], v60 offset:1424
	s_waitcnt lgkmcnt(2)
	;;#ASMSTART
	v_dot2_f32_f16 v34, v92, v88, v34
	;;#ASMEND
	;;#ASMSTART
	v_dot2_f32_f16 v34, v93, v89, v34
	;;#ASMEND
	;;#ASMSTART
	v_dot2_f32_f16 v34, v94, v90, v34
	;;#ASMEND
	;;#ASMSTART
	v_dot2_f32_f16 v34, v95, v91, v34
	;;#ASMEND
	s_waitcnt lgkmcnt(0)
	;;#ASMSTART
	v_dot2_f32_f16 v36, v92, v100, v36
	;;#ASMEND
	;;#ASMSTART
	v_dot2_f32_f16 v36, v93, v101, v36
	;;#ASMEND
	;;#ASMSTART
	v_dot2_f32_f16 v36, v94, v102, v36
	;;#ASMEND
	;;#ASMSTART
	v_dot2_f32_f16 v36, v95, v103, v36
	;;#ASMEND
	;;#ASMSTART
	v_dot2_f32_f16 v35, v96, v88, v35
	;;#ASMEND
	;;#ASMSTART
	v_dot2_f32_f16 v35, v97, v89, v35
	;;#ASMEND
	;;#ASMSTART
	v_dot2_f32_f16 v35, v98, v90, v35
	;;#ASMEND
	;;#ASMSTART
	v_dot2_f32_f16 v35, v99, v91, v35
	;;#ASMEND
	;;#ASMSTART
	v_dot2_f32_f16 v37, v96, v100, v37
	;;#ASMEND
	;;#ASMSTART
	v_dot2_f32_f16 v37, v97, v101, v37
	;;#ASMEND
	;;#ASMSTART
	v_dot2_f32_f16 v37, v98, v102, v37
	;;#ASMEND
	;;#ASMSTART
	v_dot2_f32_f16 v37, v99, v103, v37
	;;#ASMEND
	ds_read_b128 v[88:91], v60 offset:416
	ds_read_b128 v[92:95], v59 offset:16416
	ds_read_b128 v[96:99], v59 offset:21024
	ds_read_b128 v[100:103], v60 offset:1440
	s_waitcnt lgkmcnt(2)
	;;#ASMSTART
	v_dot2_f32_f16 v34, v92, v88, v34
	;;#ASMEND
	;;#ASMSTART
	v_dot2_f32_f16 v34, v93, v89, v34
	;;#ASMEND
	;;#ASMSTART
	v_dot2_f32_f16 v34, v94, v90, v34
	;;#ASMEND
	;;#ASMSTART
	v_dot2_f32_f16 v34, v95, v91, v34
	;;#ASMEND
	s_waitcnt lgkmcnt(0)
	;;#ASMSTART
	v_dot2_f32_f16 v36, v92, v100, v36
	;;#ASMEND
	;;#ASMSTART
	v_dot2_f32_f16 v36, v93, v101, v36
	;;#ASMEND
	;;#ASMSTART
	v_dot2_f32_f16 v36, v94, v102, v36
	;;#ASMEND
	;;#ASMSTART
	v_dot2_f32_f16 v36, v95, v103, v36
	;;#ASMEND
	;;#ASMSTART
	v_dot2_f32_f16 v35, v96, v88, v35
	;;#ASMEND
	;;#ASMSTART
	v_dot2_f32_f16 v35, v97, v89, v35
	;;#ASMEND
	;;#ASMSTART
	v_dot2_f32_f16 v35, v98, v90, v35
	;;#ASMEND
	;;#ASMSTART
	v_dot2_f32_f16 v35, v99, v91, v35
	;;#ASMEND
	;;#ASMSTART
	v_dot2_f32_f16 v37, v96, v100, v37
	;;#ASMEND
	;;#ASMSTART
	v_dot2_f32_f16 v37, v97, v101, v37
	;;#ASMEND
	;;#ASMSTART
	v_dot2_f32_f16 v37, v98, v102, v37
	;;#ASMEND
	;;#ASMSTART
	v_dot2_f32_f16 v37, v99, v103, v37
	;;#ASMEND
	ds_read_b128 v[88:91], v60 offset:432
	ds_read_b128 v[92:95], v59 offset:16432
	ds_read_b128 v[96:99], v59 offset:21040
	ds_read_b128 v[100:103], v60 offset:1456
	s_waitcnt lgkmcnt(2)
	;;#ASMSTART
	v_dot2_f32_f16 v34, v92, v88, v34
	;;#ASMEND
	;;#ASMSTART
	v_dot2_f32_f16 v34, v93, v89, v34
	;;#ASMEND
	;;#ASMSTART
	v_dot2_f32_f16 v34, v94, v90, v34
	;;#ASMEND
	;;#ASMSTART
	v_dot2_f32_f16 v34, v95, v91, v34
	;;#ASMEND
	s_waitcnt lgkmcnt(0)
	;;#ASMSTART
	v_dot2_f32_f16 v36, v92, v100, v36
	;;#ASMEND
	;;#ASMSTART
	v_dot2_f32_f16 v36, v93, v101, v36
	;;#ASMEND
	;;#ASMSTART
	v_dot2_f32_f16 v36, v94, v102, v36
	;;#ASMEND
	;;#ASMSTART
	v_dot2_f32_f16 v36, v95, v103, v36
	;;#ASMEND
	;;#ASMSTART
	v_dot2_f32_f16 v35, v96, v88, v35
	;;#ASMEND
	;;#ASMSTART
	v_dot2_f32_f16 v35, v97, v89, v35
	;;#ASMEND
	;;#ASMSTART
	v_dot2_f32_f16 v35, v98, v90, v35
	;;#ASMEND
	;;#ASMSTART
	v_dot2_f32_f16 v35, v99, v91, v35
	;;#ASMEND
	;;#ASMSTART
	v_dot2_f32_f16 v37, v96, v100, v37
	;;#ASMEND
	;;#ASMSTART
	v_dot2_f32_f16 v37, v97, v101, v37
	;;#ASMEND
	;;#ASMSTART
	v_dot2_f32_f16 v37, v98, v102, v37
	;;#ASMEND
	;;#ASMSTART
	v_dot2_f32_f16 v37, v99, v103, v37
	;;#ASMEND
	ds_read_b128 v[88:91], v60 offset:448
	ds_read_b128 v[92:95], v59 offset:16448
	ds_read_b128 v[96:99], v59 offset:21056
	ds_read_b128 v[100:103], v60 offset:1472
	s_waitcnt lgkmcnt(2)
	;;#ASMSTART
	v_dot2_f32_f16 v34, v92, v88, v34
	;;#ASMEND
	;;#ASMSTART
	v_dot2_f32_f16 v34, v93, v89, v34
	;;#ASMEND
	;;#ASMSTART
	v_dot2_f32_f16 v34, v94, v90, v34
	;;#ASMEND
	;;#ASMSTART
	v_dot2_f32_f16 v34, v95, v91, v34
	;;#ASMEND
	s_waitcnt lgkmcnt(0)
	;;#ASMSTART
	v_dot2_f32_f16 v36, v92, v100, v36
	;;#ASMEND
	;;#ASMSTART
	v_dot2_f32_f16 v36, v93, v101, v36
	;;#ASMEND
	;;#ASMSTART
	v_dot2_f32_f16 v36, v94, v102, v36
	;;#ASMEND
	;;#ASMSTART
	v_dot2_f32_f16 v36, v95, v103, v36
	;;#ASMEND
	;;#ASMSTART
	v_dot2_f32_f16 v35, v96, v88, v35
	;;#ASMEND
	;;#ASMSTART
	v_dot2_f32_f16 v35, v97, v89, v35
	;;#ASMEND
	;;#ASMSTART
	v_dot2_f32_f16 v35, v98, v90, v35
	;;#ASMEND
	;;#ASMSTART
	v_dot2_f32_f16 v35, v99, v91, v35
	;;#ASMEND
	;;#ASMSTART
	v_dot2_f32_f16 v37, v96, v100, v37
	;;#ASMEND
	;;#ASMSTART
	v_dot2_f32_f16 v37, v97, v101, v37
	;;#ASMEND
	;;#ASMSTART
	v_dot2_f32_f16 v37, v98, v102, v37
	;;#ASMEND
	;;#ASMSTART
	v_dot2_f32_f16 v37, v99, v103, v37
	;;#ASMEND
	ds_read_b128 v[88:91], v60 offset:464
	ds_read_b128 v[92:95], v59 offset:16464
	ds_read_b128 v[96:99], v59 offset:21072
	ds_read_b128 v[100:103], v60 offset:1488
	s_waitcnt lgkmcnt(2)
	;;#ASMSTART
	v_dot2_f32_f16 v34, v92, v88, v34
	;;#ASMEND
	;;#ASMSTART
	v_dot2_f32_f16 v34, v93, v89, v34
	;;#ASMEND
	;;#ASMSTART
	v_dot2_f32_f16 v34, v94, v90, v34
	;;#ASMEND
	;;#ASMSTART
	v_dot2_f32_f16 v34, v95, v91, v34
	;;#ASMEND
	s_waitcnt lgkmcnt(0)
	;;#ASMSTART
	v_dot2_f32_f16 v36, v92, v100, v36
	;;#ASMEND
	;;#ASMSTART
	v_dot2_f32_f16 v36, v93, v101, v36
	;;#ASMEND
	;;#ASMSTART
	v_dot2_f32_f16 v36, v94, v102, v36
	;;#ASMEND
	;;#ASMSTART
	v_dot2_f32_f16 v36, v95, v103, v36
	;;#ASMEND
	;;#ASMSTART
	v_dot2_f32_f16 v35, v96, v88, v35
	;;#ASMEND
	;;#ASMSTART
	v_dot2_f32_f16 v35, v97, v89, v35
	;;#ASMEND
	;;#ASMSTART
	v_dot2_f32_f16 v35, v98, v90, v35
	;;#ASMEND
	;;#ASMSTART
	v_dot2_f32_f16 v35, v99, v91, v35
	;;#ASMEND
	;;#ASMSTART
	v_dot2_f32_f16 v37, v96, v100, v37
	;;#ASMEND
	;;#ASMSTART
	v_dot2_f32_f16 v37, v97, v101, v37
	;;#ASMEND
	;;#ASMSTART
	v_dot2_f32_f16 v37, v98, v102, v37
	;;#ASMEND
	;;#ASMSTART
	v_dot2_f32_f16 v37, v99, v103, v37
	;;#ASMEND
	ds_read_b128 v[88:91], v60 offset:480
	ds_read_b128 v[92:95], v59 offset:16480
	ds_read_b128 v[96:99], v59 offset:21088
	ds_read_b128 v[100:103], v60 offset:1504
	s_waitcnt lgkmcnt(2)
	;;#ASMSTART
	v_dot2_f32_f16 v34, v92, v88, v34
	;;#ASMEND
	;;#ASMSTART
	v_dot2_f32_f16 v34, v93, v89, v34
	;;#ASMEND
	;;#ASMSTART
	v_dot2_f32_f16 v34, v94, v90, v34
	;;#ASMEND
	;;#ASMSTART
	v_dot2_f32_f16 v34, v95, v91, v34
	;;#ASMEND
	s_waitcnt lgkmcnt(0)
	;;#ASMSTART
	v_dot2_f32_f16 v36, v92, v100, v36
	;;#ASMEND
	;;#ASMSTART
	v_dot2_f32_f16 v36, v93, v101, v36
	;;#ASMEND
	;;#ASMSTART
	v_dot2_f32_f16 v36, v94, v102, v36
	;;#ASMEND
	;;#ASMSTART
	v_dot2_f32_f16 v36, v95, v103, v36
	;;#ASMEND
	;;#ASMSTART
	v_dot2_f32_f16 v35, v96, v88, v35
	;;#ASMEND
	;;#ASMSTART
	v_dot2_f32_f16 v35, v97, v89, v35
	;;#ASMEND
	;;#ASMSTART
	v_dot2_f32_f16 v35, v98, v90, v35
	;;#ASMEND
	;;#ASMSTART
	v_dot2_f32_f16 v35, v99, v91, v35
	;;#ASMEND
	;;#ASMSTART
	v_dot2_f32_f16 v37, v96, v100, v37
	;;#ASMEND
	;;#ASMSTART
	v_dot2_f32_f16 v37, v97, v101, v37
	;;#ASMEND
	;;#ASMSTART
	v_dot2_f32_f16 v37, v98, v102, v37
	;;#ASMEND
	;;#ASMSTART
	v_dot2_f32_f16 v37, v99, v103, v37
	;;#ASMEND
	ds_read_b128 v[88:91], v60 offset:496
	ds_read_b128 v[92:95], v59 offset:16496
	ds_read_b128 v[96:99], v59 offset:21104
	ds_read_b128 v[100:103], v60 offset:1520
	s_waitcnt lgkmcnt(2)
	;;#ASMSTART
	v_dot2_f32_f16 v34, v92, v88, v34
	;;#ASMEND
	;;#ASMSTART
	v_dot2_f32_f16 v34, v93, v89, v34
	;;#ASMEND
	;;#ASMSTART
	v_dot2_f32_f16 v34, v94, v90, v34
	;;#ASMEND
	;;#ASMSTART
	v_dot2_f32_f16 v34, v95, v91, v34
	;;#ASMEND
	s_waitcnt lgkmcnt(0)
	;;#ASMSTART
	v_dot2_f32_f16 v36, v92, v100, v36
	;;#ASMEND
	;;#ASMSTART
	v_dot2_f32_f16 v36, v93, v101, v36
	;;#ASMEND
	;;#ASMSTART
	v_dot2_f32_f16 v36, v94, v102, v36
	;;#ASMEND
	;;#ASMSTART
	v_dot2_f32_f16 v36, v95, v103, v36
	;;#ASMEND
	;;#ASMSTART
	v_dot2_f32_f16 v35, v96, v88, v35
	;;#ASMEND
	;;#ASMSTART
	v_dot2_f32_f16 v35, v97, v89, v35
	;;#ASMEND
	;;#ASMSTART
	v_dot2_f32_f16 v35, v98, v90, v35
	;;#ASMEND
	;;#ASMSTART
	v_dot2_f32_f16 v35, v99, v91, v35
	;;#ASMEND
	;;#ASMSTART
	v_dot2_f32_f16 v37, v96, v100, v37
	;;#ASMEND
	;;#ASMSTART
	v_dot2_f32_f16 v37, v97, v101, v37
	;;#ASMEND
	;;#ASMSTART
	v_dot2_f32_f16 v37, v98, v102, v37
	;;#ASMEND
	;;#ASMSTART
	v_dot2_f32_f16 v37, v99, v103, v37
	;;#ASMEND
	s_barrier
	global_load_dwordx4 v[88:91], v[4:5], off offset:512
	global_load_dwordx4 v[92:95], v[2:3], off offset:512
	s_waitcnt vmcnt(1)
	ds_write_b128 v57, v[88:91]
	s_waitcnt vmcnt(0)
	ds_write_b128 v58, v[92:95]
	s_waitcnt lgkmcnt(0)
	s_barrier
	ds_read_b128 v[88:91], v60 offset:512
	ds_read_b128 v[92:95], v59 offset:16384
	ds_read_b128 v[96:99], v59 offset:20992
	ds_read_b128 v[100:103], v60 offset:1536
	s_waitcnt lgkmcnt(2)
	;;#ASMSTART
	v_dot2_f32_f16 v34, v92, v88, v34
	;;#ASMEND
	;;#ASMSTART
	v_dot2_f32_f16 v34, v93, v89, v34
	;;#ASMEND
	;;#ASMSTART
	v_dot2_f32_f16 v34, v94, v90, v34
	;;#ASMEND
	;;#ASMSTART
	v_dot2_f32_f16 v34, v95, v91, v34
	;;#ASMEND
	s_waitcnt lgkmcnt(0)
	;;#ASMSTART
	v_dot2_f32_f16 v36, v92, v100, v36
	;;#ASMEND
	;;#ASMSTART
	v_dot2_f32_f16 v36, v93, v101, v36
	;;#ASMEND
	;;#ASMSTART
	v_dot2_f32_f16 v36, v94, v102, v36
	;;#ASMEND
	;;#ASMSTART
	v_dot2_f32_f16 v36, v95, v103, v36
	;;#ASMEND
	;;#ASMSTART
	v_dot2_f32_f16 v35, v96, v88, v35
	;;#ASMEND
	;;#ASMSTART
	v_dot2_f32_f16 v35, v97, v89, v35
	;;#ASMEND
	;;#ASMSTART
	v_dot2_f32_f16 v35, v98, v90, v35
	;;#ASMEND
	;;#ASMSTART
	v_dot2_f32_f16 v35, v99, v91, v35
	;;#ASMEND
	;;#ASMSTART
	v_dot2_f32_f16 v37, v96, v100, v37
	;;#ASMEND
	;;#ASMSTART
	v_dot2_f32_f16 v37, v97, v101, v37
	;;#ASMEND
	;;#ASMSTART
	v_dot2_f32_f16 v37, v98, v102, v37
	;;#ASMEND
	;;#ASMSTART
	v_dot2_f32_f16 v37, v99, v103, v37
	;;#ASMEND
	ds_read_b128 v[88:91], v60 offset:528
	ds_read_b128 v[92:95], v59 offset:16400
	ds_read_b128 v[96:99], v59 offset:21008
	ds_read_b128 v[100:103], v60 offset:1552
	s_waitcnt lgkmcnt(2)
	;;#ASMSTART
	v_dot2_f32_f16 v34, v92, v88, v34
	;;#ASMEND
	;;#ASMSTART
	v_dot2_f32_f16 v34, v93, v89, v34
	;;#ASMEND
	;;#ASMSTART
	v_dot2_f32_f16 v34, v94, v90, v34
	;;#ASMEND
	;;#ASMSTART
	v_dot2_f32_f16 v34, v95, v91, v34
	;;#ASMEND
	s_waitcnt lgkmcnt(0)
	;;#ASMSTART
	v_dot2_f32_f16 v36, v92, v100, v36
	;;#ASMEND
	;;#ASMSTART
	v_dot2_f32_f16 v36, v93, v101, v36
	;;#ASMEND
	;;#ASMSTART
	v_dot2_f32_f16 v36, v94, v102, v36
	;;#ASMEND
	;;#ASMSTART
	v_dot2_f32_f16 v36, v95, v103, v36
	;;#ASMEND
	;;#ASMSTART
	v_dot2_f32_f16 v35, v96, v88, v35
	;;#ASMEND
	;;#ASMSTART
	v_dot2_f32_f16 v35, v97, v89, v35
	;;#ASMEND
	;;#ASMSTART
	v_dot2_f32_f16 v35, v98, v90, v35
	;;#ASMEND
	;;#ASMSTART
	v_dot2_f32_f16 v35, v99, v91, v35
	;;#ASMEND
	;;#ASMSTART
	v_dot2_f32_f16 v37, v96, v100, v37
	;;#ASMEND
	;;#ASMSTART
	v_dot2_f32_f16 v37, v97, v101, v37
	;;#ASMEND
	;;#ASMSTART
	v_dot2_f32_f16 v37, v98, v102, v37
	;;#ASMEND
	;;#ASMSTART
	v_dot2_f32_f16 v37, v99, v103, v37
	;;#ASMEND
	;; [unrolled: 54-line block ×8, first 2 shown]
	s_barrier
	global_load_dwordx4 v[88:91], v[4:5], off offset:640
	global_load_dwordx4 v[92:95], v[2:3], off offset:640
	s_waitcnt vmcnt(1)
	ds_write_b128 v57, v[88:91]
	s_waitcnt vmcnt(0)
	ds_write_b128 v58, v[92:95]
	s_waitcnt lgkmcnt(0)
	s_barrier
	ds_read_b128 v[88:91], v60 offset:640
	ds_read_b128 v[92:95], v59 offset:16384
	ds_read_b128 v[96:99], v59 offset:20992
	ds_read_b128 v[100:103], v60 offset:1664
	s_waitcnt lgkmcnt(2)
	;;#ASMSTART
	v_dot2_f32_f16 v34, v92, v88, v34
	;;#ASMEND
	;;#ASMSTART
	v_dot2_f32_f16 v34, v93, v89, v34
	;;#ASMEND
	;;#ASMSTART
	v_dot2_f32_f16 v34, v94, v90, v34
	;;#ASMEND
	;;#ASMSTART
	v_dot2_f32_f16 v34, v95, v91, v34
	;;#ASMEND
	s_waitcnt lgkmcnt(0)
	;;#ASMSTART
	v_dot2_f32_f16 v36, v92, v100, v36
	;;#ASMEND
	;;#ASMSTART
	v_dot2_f32_f16 v36, v93, v101, v36
	;;#ASMEND
	;;#ASMSTART
	v_dot2_f32_f16 v36, v94, v102, v36
	;;#ASMEND
	;;#ASMSTART
	v_dot2_f32_f16 v36, v95, v103, v36
	;;#ASMEND
	;;#ASMSTART
	v_dot2_f32_f16 v35, v96, v88, v35
	;;#ASMEND
	;;#ASMSTART
	v_dot2_f32_f16 v35, v97, v89, v35
	;;#ASMEND
	;;#ASMSTART
	v_dot2_f32_f16 v35, v98, v90, v35
	;;#ASMEND
	;;#ASMSTART
	v_dot2_f32_f16 v35, v99, v91, v35
	;;#ASMEND
	;;#ASMSTART
	v_dot2_f32_f16 v37, v96, v100, v37
	;;#ASMEND
	;;#ASMSTART
	v_dot2_f32_f16 v37, v97, v101, v37
	;;#ASMEND
	;;#ASMSTART
	v_dot2_f32_f16 v37, v98, v102, v37
	;;#ASMEND
	;;#ASMSTART
	v_dot2_f32_f16 v37, v99, v103, v37
	;;#ASMEND
	ds_read_b128 v[88:91], v60 offset:656
	ds_read_b128 v[92:95], v59 offset:16400
	ds_read_b128 v[96:99], v59 offset:21008
	ds_read_b128 v[100:103], v60 offset:1680
	s_waitcnt lgkmcnt(2)
	;;#ASMSTART
	v_dot2_f32_f16 v34, v92, v88, v34
	;;#ASMEND
	;;#ASMSTART
	v_dot2_f32_f16 v34, v93, v89, v34
	;;#ASMEND
	;;#ASMSTART
	v_dot2_f32_f16 v34, v94, v90, v34
	;;#ASMEND
	;;#ASMSTART
	v_dot2_f32_f16 v34, v95, v91, v34
	;;#ASMEND
	s_waitcnt lgkmcnt(0)
	;;#ASMSTART
	v_dot2_f32_f16 v36, v92, v100, v36
	;;#ASMEND
	;;#ASMSTART
	v_dot2_f32_f16 v36, v93, v101, v36
	;;#ASMEND
	;;#ASMSTART
	v_dot2_f32_f16 v36, v94, v102, v36
	;;#ASMEND
	;;#ASMSTART
	v_dot2_f32_f16 v36, v95, v103, v36
	;;#ASMEND
	;;#ASMSTART
	v_dot2_f32_f16 v35, v96, v88, v35
	;;#ASMEND
	;;#ASMSTART
	v_dot2_f32_f16 v35, v97, v89, v35
	;;#ASMEND
	;;#ASMSTART
	v_dot2_f32_f16 v35, v98, v90, v35
	;;#ASMEND
	;;#ASMSTART
	v_dot2_f32_f16 v35, v99, v91, v35
	;;#ASMEND
	;;#ASMSTART
	v_dot2_f32_f16 v37, v96, v100, v37
	;;#ASMEND
	;;#ASMSTART
	v_dot2_f32_f16 v37, v97, v101, v37
	;;#ASMEND
	;;#ASMSTART
	v_dot2_f32_f16 v37, v98, v102, v37
	;;#ASMEND
	;;#ASMSTART
	v_dot2_f32_f16 v37, v99, v103, v37
	;;#ASMEND
	ds_read_b128 v[88:91], v60 offset:672
	ds_read_b128 v[92:95], v59 offset:16416
	ds_read_b128 v[96:99], v59 offset:21024
	ds_read_b128 v[100:103], v60 offset:1696
	s_waitcnt lgkmcnt(2)
	;;#ASMSTART
	v_dot2_f32_f16 v34, v92, v88, v34
	;;#ASMEND
	;;#ASMSTART
	v_dot2_f32_f16 v34, v93, v89, v34
	;;#ASMEND
	;;#ASMSTART
	v_dot2_f32_f16 v34, v94, v90, v34
	;;#ASMEND
	;;#ASMSTART
	v_dot2_f32_f16 v34, v95, v91, v34
	;;#ASMEND
	s_waitcnt lgkmcnt(0)
	;;#ASMSTART
	v_dot2_f32_f16 v36, v92, v100, v36
	;;#ASMEND
	;;#ASMSTART
	v_dot2_f32_f16 v36, v93, v101, v36
	;;#ASMEND
	;;#ASMSTART
	v_dot2_f32_f16 v36, v94, v102, v36
	;;#ASMEND
	;;#ASMSTART
	v_dot2_f32_f16 v36, v95, v103, v36
	;;#ASMEND
	;;#ASMSTART
	v_dot2_f32_f16 v35, v96, v88, v35
	;;#ASMEND
	;;#ASMSTART
	v_dot2_f32_f16 v35, v97, v89, v35
	;;#ASMEND
	;;#ASMSTART
	v_dot2_f32_f16 v35, v98, v90, v35
	;;#ASMEND
	;;#ASMSTART
	v_dot2_f32_f16 v35, v99, v91, v35
	;;#ASMEND
	;;#ASMSTART
	v_dot2_f32_f16 v37, v96, v100, v37
	;;#ASMEND
	;;#ASMSTART
	v_dot2_f32_f16 v37, v97, v101, v37
	;;#ASMEND
	;;#ASMSTART
	v_dot2_f32_f16 v37, v98, v102, v37
	;;#ASMEND
	;;#ASMSTART
	v_dot2_f32_f16 v37, v99, v103, v37
	;;#ASMEND
	ds_read_b128 v[88:91], v60 offset:688
	ds_read_b128 v[92:95], v59 offset:16432
	ds_read_b128 v[96:99], v59 offset:21040
	ds_read_b128 v[100:103], v60 offset:1712
	s_waitcnt lgkmcnt(2)
	;;#ASMSTART
	v_dot2_f32_f16 v34, v92, v88, v34
	;;#ASMEND
	;;#ASMSTART
	v_dot2_f32_f16 v34, v93, v89, v34
	;;#ASMEND
	;;#ASMSTART
	v_dot2_f32_f16 v34, v94, v90, v34
	;;#ASMEND
	;;#ASMSTART
	v_dot2_f32_f16 v34, v95, v91, v34
	;;#ASMEND
	s_waitcnt lgkmcnt(0)
	;;#ASMSTART
	v_dot2_f32_f16 v36, v92, v100, v36
	;;#ASMEND
	;;#ASMSTART
	v_dot2_f32_f16 v36, v93, v101, v36
	;;#ASMEND
	;;#ASMSTART
	v_dot2_f32_f16 v36, v94, v102, v36
	;;#ASMEND
	;;#ASMSTART
	v_dot2_f32_f16 v36, v95, v103, v36
	;;#ASMEND
	;;#ASMSTART
	v_dot2_f32_f16 v35, v96, v88, v35
	;;#ASMEND
	;;#ASMSTART
	v_dot2_f32_f16 v35, v97, v89, v35
	;;#ASMEND
	;;#ASMSTART
	v_dot2_f32_f16 v35, v98, v90, v35
	;;#ASMEND
	;;#ASMSTART
	v_dot2_f32_f16 v35, v99, v91, v35
	;;#ASMEND
	;;#ASMSTART
	v_dot2_f32_f16 v37, v96, v100, v37
	;;#ASMEND
	;;#ASMSTART
	v_dot2_f32_f16 v37, v97, v101, v37
	;;#ASMEND
	;;#ASMSTART
	v_dot2_f32_f16 v37, v98, v102, v37
	;;#ASMEND
	;;#ASMSTART
	v_dot2_f32_f16 v37, v99, v103, v37
	;;#ASMEND
	ds_read_b128 v[88:91], v60 offset:704
	ds_read_b128 v[92:95], v59 offset:16448
	ds_read_b128 v[96:99], v59 offset:21056
	ds_read_b128 v[100:103], v60 offset:1728
	s_waitcnt lgkmcnt(2)
	;;#ASMSTART
	v_dot2_f32_f16 v34, v92, v88, v34
	;;#ASMEND
	;;#ASMSTART
	v_dot2_f32_f16 v34, v93, v89, v34
	;;#ASMEND
	;;#ASMSTART
	v_dot2_f32_f16 v34, v94, v90, v34
	;;#ASMEND
	;;#ASMSTART
	v_dot2_f32_f16 v34, v95, v91, v34
	;;#ASMEND
	s_waitcnt lgkmcnt(0)
	;;#ASMSTART
	v_dot2_f32_f16 v36, v92, v100, v36
	;;#ASMEND
	;;#ASMSTART
	v_dot2_f32_f16 v36, v93, v101, v36
	;;#ASMEND
	;;#ASMSTART
	v_dot2_f32_f16 v36, v94, v102, v36
	;;#ASMEND
	;;#ASMSTART
	v_dot2_f32_f16 v36, v95, v103, v36
	;;#ASMEND
	;;#ASMSTART
	v_dot2_f32_f16 v35, v96, v88, v35
	;;#ASMEND
	;;#ASMSTART
	v_dot2_f32_f16 v35, v97, v89, v35
	;;#ASMEND
	;;#ASMSTART
	v_dot2_f32_f16 v35, v98, v90, v35
	;;#ASMEND
	;;#ASMSTART
	v_dot2_f32_f16 v35, v99, v91, v35
	;;#ASMEND
	;;#ASMSTART
	v_dot2_f32_f16 v37, v96, v100, v37
	;;#ASMEND
	;;#ASMSTART
	v_dot2_f32_f16 v37, v97, v101, v37
	;;#ASMEND
	;;#ASMSTART
	v_dot2_f32_f16 v37, v98, v102, v37
	;;#ASMEND
	;;#ASMSTART
	v_dot2_f32_f16 v37, v99, v103, v37
	;;#ASMEND
	ds_read_b128 v[88:91], v60 offset:720
	ds_read_b128 v[92:95], v59 offset:16464
	ds_read_b128 v[96:99], v59 offset:21072
	ds_read_b128 v[100:103], v60 offset:1744
	s_waitcnt lgkmcnt(2)
	;;#ASMSTART
	v_dot2_f32_f16 v34, v92, v88, v34
	;;#ASMEND
	;;#ASMSTART
	v_dot2_f32_f16 v34, v93, v89, v34
	;;#ASMEND
	;;#ASMSTART
	v_dot2_f32_f16 v34, v94, v90, v34
	;;#ASMEND
	;;#ASMSTART
	v_dot2_f32_f16 v34, v95, v91, v34
	;;#ASMEND
	s_waitcnt lgkmcnt(0)
	;;#ASMSTART
	v_dot2_f32_f16 v36, v92, v100, v36
	;;#ASMEND
	;;#ASMSTART
	v_dot2_f32_f16 v36, v93, v101, v36
	;;#ASMEND
	;;#ASMSTART
	v_dot2_f32_f16 v36, v94, v102, v36
	;;#ASMEND
	;;#ASMSTART
	v_dot2_f32_f16 v36, v95, v103, v36
	;;#ASMEND
	;;#ASMSTART
	v_dot2_f32_f16 v35, v96, v88, v35
	;;#ASMEND
	;;#ASMSTART
	v_dot2_f32_f16 v35, v97, v89, v35
	;;#ASMEND
	;;#ASMSTART
	v_dot2_f32_f16 v35, v98, v90, v35
	;;#ASMEND
	;;#ASMSTART
	v_dot2_f32_f16 v35, v99, v91, v35
	;;#ASMEND
	;;#ASMSTART
	v_dot2_f32_f16 v37, v96, v100, v37
	;;#ASMEND
	;;#ASMSTART
	v_dot2_f32_f16 v37, v97, v101, v37
	;;#ASMEND
	;;#ASMSTART
	v_dot2_f32_f16 v37, v98, v102, v37
	;;#ASMEND
	;;#ASMSTART
	v_dot2_f32_f16 v37, v99, v103, v37
	;;#ASMEND
	ds_read_b128 v[88:91], v60 offset:736
	ds_read_b128 v[92:95], v59 offset:16480
	ds_read_b128 v[96:99], v59 offset:21088
	ds_read_b128 v[100:103], v60 offset:1760
	s_waitcnt lgkmcnt(2)
	;;#ASMSTART
	v_dot2_f32_f16 v34, v92, v88, v34
	;;#ASMEND
	;;#ASMSTART
	v_dot2_f32_f16 v34, v93, v89, v34
	;;#ASMEND
	;;#ASMSTART
	v_dot2_f32_f16 v34, v94, v90, v34
	;;#ASMEND
	;;#ASMSTART
	v_dot2_f32_f16 v34, v95, v91, v34
	;;#ASMEND
	s_waitcnt lgkmcnt(0)
	;;#ASMSTART
	v_dot2_f32_f16 v36, v92, v100, v36
	;;#ASMEND
	;;#ASMSTART
	v_dot2_f32_f16 v36, v93, v101, v36
	;;#ASMEND
	;;#ASMSTART
	v_dot2_f32_f16 v36, v94, v102, v36
	;;#ASMEND
	;;#ASMSTART
	v_dot2_f32_f16 v36, v95, v103, v36
	;;#ASMEND
	;;#ASMSTART
	v_dot2_f32_f16 v35, v96, v88, v35
	;;#ASMEND
	;;#ASMSTART
	v_dot2_f32_f16 v35, v97, v89, v35
	;;#ASMEND
	;;#ASMSTART
	v_dot2_f32_f16 v35, v98, v90, v35
	;;#ASMEND
	;;#ASMSTART
	v_dot2_f32_f16 v35, v99, v91, v35
	;;#ASMEND
	;;#ASMSTART
	v_dot2_f32_f16 v37, v96, v100, v37
	;;#ASMEND
	;;#ASMSTART
	v_dot2_f32_f16 v37, v97, v101, v37
	;;#ASMEND
	;;#ASMSTART
	v_dot2_f32_f16 v37, v98, v102, v37
	;;#ASMEND
	;;#ASMSTART
	v_dot2_f32_f16 v37, v99, v103, v37
	;;#ASMEND
	ds_read_b128 v[88:91], v60 offset:752
	ds_read_b128 v[92:95], v59 offset:16496
	ds_read_b128 v[96:99], v59 offset:21104
	ds_read_b128 v[100:103], v60 offset:1776
	s_waitcnt lgkmcnt(2)
	;;#ASMSTART
	v_dot2_f32_f16 v34, v92, v88, v34
	;;#ASMEND
	;;#ASMSTART
	v_dot2_f32_f16 v34, v93, v89, v34
	;;#ASMEND
	;;#ASMSTART
	v_dot2_f32_f16 v34, v94, v90, v34
	;;#ASMEND
	;;#ASMSTART
	v_dot2_f32_f16 v34, v95, v91, v34
	;;#ASMEND
	s_waitcnt lgkmcnt(0)
	;;#ASMSTART
	v_dot2_f32_f16 v36, v92, v100, v36
	;;#ASMEND
	;;#ASMSTART
	v_dot2_f32_f16 v36, v93, v101, v36
	;;#ASMEND
	;;#ASMSTART
	v_dot2_f32_f16 v36, v94, v102, v36
	;;#ASMEND
	;;#ASMSTART
	v_dot2_f32_f16 v36, v95, v103, v36
	;;#ASMEND
	;;#ASMSTART
	v_dot2_f32_f16 v35, v96, v88, v35
	;;#ASMEND
	;;#ASMSTART
	v_dot2_f32_f16 v35, v97, v89, v35
	;;#ASMEND
	;;#ASMSTART
	v_dot2_f32_f16 v35, v98, v90, v35
	;;#ASMEND
	;;#ASMSTART
	v_dot2_f32_f16 v35, v99, v91, v35
	;;#ASMEND
	;;#ASMSTART
	v_dot2_f32_f16 v37, v96, v100, v37
	;;#ASMEND
	;;#ASMSTART
	v_dot2_f32_f16 v37, v97, v101, v37
	;;#ASMEND
	;;#ASMSTART
	v_dot2_f32_f16 v37, v98, v102, v37
	;;#ASMEND
	;;#ASMSTART
	v_dot2_f32_f16 v37, v99, v103, v37
	;;#ASMEND
	s_barrier
	global_load_dwordx4 v[88:91], v[4:5], off offset:768
	global_load_dwordx4 v[92:95], v[2:3], off offset:768
	s_waitcnt vmcnt(1)
	ds_write_b128 v57, v[88:91]
	s_waitcnt vmcnt(0)
	ds_write_b128 v58, v[92:95]
	s_waitcnt lgkmcnt(0)
	s_barrier
	ds_read_b128 v[88:91], v60 offset:768
	ds_read_b128 v[92:95], v59 offset:16384
	ds_read_b128 v[96:99], v59 offset:20992
	ds_read_b128 v[100:103], v60 offset:1792
	s_waitcnt lgkmcnt(2)
	;;#ASMSTART
	v_dot2_f32_f16 v34, v92, v88, v34
	;;#ASMEND
	;;#ASMSTART
	v_dot2_f32_f16 v34, v93, v89, v34
	;;#ASMEND
	;;#ASMSTART
	v_dot2_f32_f16 v34, v94, v90, v34
	;;#ASMEND
	;;#ASMSTART
	v_dot2_f32_f16 v34, v95, v91, v34
	;;#ASMEND
	s_waitcnt lgkmcnt(0)
	;;#ASMSTART
	v_dot2_f32_f16 v36, v92, v100, v36
	;;#ASMEND
	;;#ASMSTART
	v_dot2_f32_f16 v36, v93, v101, v36
	;;#ASMEND
	;;#ASMSTART
	v_dot2_f32_f16 v36, v94, v102, v36
	;;#ASMEND
	;;#ASMSTART
	v_dot2_f32_f16 v36, v95, v103, v36
	;;#ASMEND
	;;#ASMSTART
	v_dot2_f32_f16 v35, v96, v88, v35
	;;#ASMEND
	;;#ASMSTART
	v_dot2_f32_f16 v35, v97, v89, v35
	;;#ASMEND
	;;#ASMSTART
	v_dot2_f32_f16 v35, v98, v90, v35
	;;#ASMEND
	;;#ASMSTART
	v_dot2_f32_f16 v35, v99, v91, v35
	;;#ASMEND
	;;#ASMSTART
	v_dot2_f32_f16 v37, v96, v100, v37
	;;#ASMEND
	;;#ASMSTART
	v_dot2_f32_f16 v37, v97, v101, v37
	;;#ASMEND
	;;#ASMSTART
	v_dot2_f32_f16 v37, v98, v102, v37
	;;#ASMEND
	;;#ASMSTART
	v_dot2_f32_f16 v37, v99, v103, v37
	;;#ASMEND
	ds_read_b128 v[88:91], v60 offset:784
	ds_read_b128 v[92:95], v59 offset:16400
	ds_read_b128 v[96:99], v59 offset:21008
	ds_read_b128 v[100:103], v60 offset:1808
	s_waitcnt lgkmcnt(2)
	;;#ASMSTART
	v_dot2_f32_f16 v34, v92, v88, v34
	;;#ASMEND
	;;#ASMSTART
	v_dot2_f32_f16 v34, v93, v89, v34
	;;#ASMEND
	;;#ASMSTART
	v_dot2_f32_f16 v34, v94, v90, v34
	;;#ASMEND
	;;#ASMSTART
	v_dot2_f32_f16 v34, v95, v91, v34
	;;#ASMEND
	s_waitcnt lgkmcnt(0)
	;;#ASMSTART
	v_dot2_f32_f16 v36, v92, v100, v36
	;;#ASMEND
	;;#ASMSTART
	v_dot2_f32_f16 v36, v93, v101, v36
	;;#ASMEND
	;;#ASMSTART
	v_dot2_f32_f16 v36, v94, v102, v36
	;;#ASMEND
	;;#ASMSTART
	v_dot2_f32_f16 v36, v95, v103, v36
	;;#ASMEND
	;;#ASMSTART
	v_dot2_f32_f16 v35, v96, v88, v35
	;;#ASMEND
	;;#ASMSTART
	v_dot2_f32_f16 v35, v97, v89, v35
	;;#ASMEND
	;;#ASMSTART
	v_dot2_f32_f16 v35, v98, v90, v35
	;;#ASMEND
	;;#ASMSTART
	v_dot2_f32_f16 v35, v99, v91, v35
	;;#ASMEND
	;;#ASMSTART
	v_dot2_f32_f16 v37, v96, v100, v37
	;;#ASMEND
	;;#ASMSTART
	v_dot2_f32_f16 v37, v97, v101, v37
	;;#ASMEND
	;;#ASMSTART
	v_dot2_f32_f16 v37, v98, v102, v37
	;;#ASMEND
	;;#ASMSTART
	v_dot2_f32_f16 v37, v99, v103, v37
	;;#ASMEND
	;; [unrolled: 54-line block ×8, first 2 shown]
	s_barrier
	global_load_dwordx4 v[88:91], v[4:5], off offset:896
	global_load_dwordx4 v[92:95], v[2:3], off offset:896
	s_waitcnt vmcnt(1)
	ds_write_b128 v57, v[88:91]
	s_waitcnt vmcnt(0)
	ds_write_b128 v58, v[92:95]
	s_waitcnt lgkmcnt(0)
	s_barrier
	ds_read_b128 v[2:5], v60 offset:896
	ds_read_b128 v[88:91], v59 offset:16384
	ds_read_b128 v[92:95], v59 offset:20992
	ds_read_b128 v[96:99], v60 offset:1920
	s_waitcnt lgkmcnt(2)
	;;#ASMSTART
	v_dot2_f32_f16 v34, v88, v2, v34
	;;#ASMEND
	;;#ASMSTART
	v_dot2_f32_f16 v34, v89, v3, v34
	;;#ASMEND
	;;#ASMSTART
	v_dot2_f32_f16 v34, v90, v4, v34
	;;#ASMEND
	;;#ASMSTART
	v_dot2_f32_f16 v34, v91, v5, v34
	;;#ASMEND
	s_waitcnt lgkmcnt(0)
	;;#ASMSTART
	v_dot2_f32_f16 v36, v88, v96, v36
	;;#ASMEND
	;;#ASMSTART
	v_dot2_f32_f16 v36, v89, v97, v36
	;;#ASMEND
	;;#ASMSTART
	v_dot2_f32_f16 v36, v90, v98, v36
	;;#ASMEND
	;;#ASMSTART
	v_dot2_f32_f16 v36, v91, v99, v36
	;;#ASMEND
	;;#ASMSTART
	v_dot2_f32_f16 v35, v92, v2, v35
	;;#ASMEND
	;;#ASMSTART
	v_dot2_f32_f16 v35, v93, v3, v35
	;;#ASMEND
	;;#ASMSTART
	v_dot2_f32_f16 v35, v94, v4, v35
	;;#ASMEND
	;;#ASMSTART
	v_dot2_f32_f16 v35, v95, v5, v35
	;;#ASMEND
	;;#ASMSTART
	v_dot2_f32_f16 v37, v92, v96, v37
	;;#ASMEND
	;;#ASMSTART
	v_dot2_f32_f16 v37, v93, v97, v37
	;;#ASMEND
	;;#ASMSTART
	v_dot2_f32_f16 v37, v94, v98, v37
	;;#ASMEND
	;;#ASMSTART
	v_dot2_f32_f16 v37, v95, v99, v37
	;;#ASMEND
	ds_read_b128 v[2:5], v60 offset:912
	ds_read_b128 v[88:91], v59 offset:16400
	ds_read_b128 v[92:95], v59 offset:21008
	ds_read_b128 v[96:99], v60 offset:1936
	s_waitcnt lgkmcnt(2)
	;;#ASMSTART
	v_dot2_f32_f16 v34, v88, v2, v34
	;;#ASMEND
	;;#ASMSTART
	v_dot2_f32_f16 v34, v89, v3, v34
	;;#ASMEND
	;;#ASMSTART
	v_dot2_f32_f16 v34, v90, v4, v34
	;;#ASMEND
	;;#ASMSTART
	v_dot2_f32_f16 v34, v91, v5, v34
	;;#ASMEND
	s_waitcnt lgkmcnt(0)
	;;#ASMSTART
	v_dot2_f32_f16 v36, v88, v96, v36
	;;#ASMEND
	;;#ASMSTART
	v_dot2_f32_f16 v36, v89, v97, v36
	;;#ASMEND
	;;#ASMSTART
	v_dot2_f32_f16 v36, v90, v98, v36
	;;#ASMEND
	;;#ASMSTART
	v_dot2_f32_f16 v36, v91, v99, v36
	;;#ASMEND
	;;#ASMSTART
	v_dot2_f32_f16 v35, v92, v2, v35
	;;#ASMEND
	;;#ASMSTART
	v_dot2_f32_f16 v35, v93, v3, v35
	;;#ASMEND
	;;#ASMSTART
	v_dot2_f32_f16 v35, v94, v4, v35
	;;#ASMEND
	;;#ASMSTART
	v_dot2_f32_f16 v35, v95, v5, v35
	;;#ASMEND
	;;#ASMSTART
	v_dot2_f32_f16 v37, v92, v96, v37
	;;#ASMEND
	;;#ASMSTART
	v_dot2_f32_f16 v37, v93, v97, v37
	;;#ASMEND
	;;#ASMSTART
	v_dot2_f32_f16 v37, v94, v98, v37
	;;#ASMEND
	;;#ASMSTART
	v_dot2_f32_f16 v37, v95, v99, v37
	;;#ASMEND
	;; [unrolled: 54-line block ×7, first 2 shown]
	ds_read_b128 v[2:5], v60 offset:1008
	ds_read_b128 v[88:91], v59 offset:16496
	;; [unrolled: 1-line block ×4, first 2 shown]
	s_waitcnt lgkmcnt(2)
	;;#ASMSTART
	v_dot2_f32_f16 v34, v88, v2, v34
	;;#ASMEND
	;;#ASMSTART
	v_dot2_f32_f16 v34, v89, v3, v34
	;;#ASMEND
	;; [unrolled: 3-line block ×4, first 2 shown]
	s_waitcnt lgkmcnt(0)
	;;#ASMSTART
	v_dot2_f32_f16 v36, v88, v96, v36
	;;#ASMEND
	;;#ASMSTART
	v_dot2_f32_f16 v36, v89, v97, v36
	;;#ASMEND
	;; [unrolled: 3-line block ×10, first 2 shown]
	v_mov_b32_e32 v39, s9
	v_add_co_u32_e64 v46, s[2:3], s8, v65
	v_mov_b32_e32 v41, s41
	v_add_co_u32_e64 v44, s[8:9], s40, v65
	v_mov_b32_e32 v54, s43
	v_add_co_u32_e64 v40, s[12:13], s42, v65
	v_mov_b32_e32 v55, s45
	v_add_co_u32_e64 v38, s[14:15], s44, v65
	;;#ASMSTART
	v_dot2_f32_f16 v37, v94, v98, v37
	;;#ASMEND
	v_addc_co_u32_e32 v51, vcc, v66, v6, vcc
	v_addc_co_u32_e64 v47, vcc, v66, v39, s[2:3]
	v_addc_co_u32_e64 v45, vcc, v66, v41, s[8:9]
	v_addc_co_u32_e64 v41, vcc, v66, v54, s[12:13]
	v_addc_co_u32_e64 v39, vcc, v66, v55, s[14:15]
	;;#ASMSTART
	v_dot2_f32_f16 v37, v95, v99, v37
	;;#ASMEND
	flat_load_ushort v54, v[0:1] offset:64
	flat_load_ushort v55, v[0:1]
	v_addc_co_u32_e64 v49, vcc, v66, v7, s[0:1]
	s_waitcnt lgkmcnt(0)
	s_barrier
	global_load_dwordx4 v[0:3], v[52:53], off
	global_load_dwordx4 v[4:7], v[52:53], off offset:512
	s_lshl_b64 s[10:11], s[10:11], 2
	v_mov_b32_e32 v43, s11
	v_add_co_u32_e64 v42, s[10:11], s10, v65
	v_addc_co_u32_e64 v43, vcc, v66, v43, s[10:11]
	s_waitcnt vmcnt(0)
	v_cvt_f32_f16_e32 v53, v54
	v_cvt_f32_f16_e32 v52, v55
	v_pk_add_f32 v[54:55], v[36:37], v[52:53]
	v_pk_add_f32 v[36:37], v[34:35], v[52:53]
	v_mov_b32_e32 v34, v36
	v_mov_b32_e32 v35, v54
	;; [unrolled: 1-line block ×4, first 2 shown]
	v_pk_add_f32 v[34:35], v[34:35], s[6:7] op_sel_hi:[1,0]
	v_pk_add_f32 v[52:53], v[52:53], s[6:7] op_sel_hi:[1,0]
	v_max3_f32 v34, v18, v34, v52
	v_max3_f32 v35, v19, v35, v53
	ds_bpermute_b32 v52, v87, v34
	ds_bpermute_b32 v53, v87, v35
	s_waitcnt lgkmcnt(1)
	v_max_f32_e32 v52, v52, v52
	s_waitcnt lgkmcnt(0)
	v_max_f32_e32 v53, v53, v53
	v_max_f32_e32 v34, v34, v52
	v_max_f32_e32 v35, v35, v53
	ds_bpermute_b32 v52, v86, v34
	ds_bpermute_b32 v53, v86, v35
	s_waitcnt lgkmcnt(1)
	v_max_f32_e32 v52, v52, v52
	s_waitcnt lgkmcnt(0)
	v_max_f32_e32 v53, v53, v53
	v_max_f32_e32 v34, v34, v52
	v_max_f32_e32 v35, v35, v53
	;; [unrolled: 8-line block ×5, first 2 shown]
	v_pk_add_f32 v[36:37], v[36:37], v[34:35] op_sel_hi:[1,0] neg_lo:[0,1] neg_hi:[0,1]
	v_pk_add_f32 v[52:53], v[18:19], v[34:35] neg_lo:[0,1] neg_hi:[0,1]
	v_mov_b32_e32 v84, v35
	v_mul_f32_e32 v85, 0x3fb8aa3b, v36
	v_mul_f32_e32 v83, 0x3fb8aa3b, v37
	v_pk_add_f32 v[54:55], v[54:55], v[84:85] op_sel_hi:[1,0] neg_lo:[0,1] neg_hi:[0,1]
	v_mul_f32_e32 v84, 0x3fb8aa3b, v53
	v_mul_f32_e32 v86, 0x3fb8aa3b, v52
	v_fma_f32 v87, v37, s31, -v83
	v_rndne_f32_e32 v88, v83
	v_fma_f32 v89, v36, s31, -v85
	v_rndne_f32_e32 v90, v85
	v_mul_f32_e32 v91, 0x3fb8aa3b, v55
	v_mul_f32_e32 v92, 0x3fb8aa3b, v54
	v_fma_f32 v93, v53, s31, -v84
	v_rndne_f32_e32 v94, v84
	v_fma_f32 v95, v52, s31, -v86
	v_rndne_f32_e32 v96, v86
	v_fmac_f32_e32 v87, 0x32a5705f, v37
	v_sub_f32_e32 v83, v83, v88
	v_fmac_f32_e32 v89, 0x32a5705f, v36
	v_sub_f32_e32 v85, v85, v90
	v_fma_f32 v97, v55, s31, -v91
	v_rndne_f32_e32 v98, v91
	v_fma_f32 v99, v54, s31, -v92
	v_rndne_f32_e32 v100, v92
	v_fmac_f32_e32 v93, 0x32a5705f, v53
	v_sub_f32_e32 v84, v84, v94
	v_fmac_f32_e32 v95, 0x32a5705f, v52
	v_sub_f32_e32 v86, v86, v96
	v_add_f32_e32 v83, v83, v87
	v_add_f32_e32 v85, v85, v89
	v_fmac_f32_e32 v97, 0x32a5705f, v55
	v_sub_f32_e32 v87, v91, v98
	v_fmac_f32_e32 v99, 0x32a5705f, v54
	v_sub_f32_e32 v91, v92, v100
	v_add_f32_e32 v84, v84, v93
	v_cvt_i32_f32_e32 v88, v88
	v_cvt_i32_f32_e32 v90, v90
	;; [unrolled: 1-line block ×3, first 2 shown]
	v_add_f32_e32 v86, v86, v95
	v_exp_f32_e32 v83, v83
	v_exp_f32_e32 v85, v85
	v_add_f32_e32 v87, v87, v97
	v_add_f32_e32 v91, v91, v99
	v_exp_f32_e32 v84, v84
	v_cvt_i32_f32_e32 v96, v96
	v_cvt_i32_f32_e32 v89, v98
	;; [unrolled: 1-line block ×3, first 2 shown]
	v_exp_f32_e32 v86, v86
	v_exp_f32_e32 v87, v87
	;; [unrolled: 1-line block ×3, first 2 shown]
	v_ldexp_f32 v83, v83, v88
	v_ldexp_f32 v85, v85, v90
	v_cmp_ngt_f32_e32 vcc, s37, v36
	v_ldexp_f32 v84, v84, v94
	v_cmp_ngt_f32_e64 s[0:1], s37, v53
	v_cmp_ngt_f32_e64 s[8:9], s37, v37
	v_ldexp_f32 v86, v86, v96
	v_cmp_ngt_f32_e64 s[2:3], s37, v52
	v_cndmask_b32_e64 v83, 0, v83, s[8:9]
	v_cndmask_b32_e32 v85, 0, v85, vcc
	v_cmp_nlt_f32_e32 vcc, s38, v36
	v_ldexp_f32 v87, v87, v89
	v_cmp_ngt_f32_e64 s[8:9], s37, v55
	v_ldexp_f32 v88, v91, v92
	v_cmp_ngt_f32_e64 s[10:11], s37, v54
	v_cndmask_b32_e64 v84, 0, v84, s[0:1]
	v_cmp_nlt_f32_e64 s[0:1], s38, v53
	v_cmp_nlt_f32_e64 s[12:13], s38, v37
	v_cndmask_b32_e64 v53, 0, v86, s[2:3]
	v_cmp_nlt_f32_e64 s[2:3], s38, v52
	v_cndmask_b32_e64 v36, v69, v83, s[12:13]
	v_cndmask_b32_e32 v52, v69, v85, vcc
	v_cndmask_b32_e64 v37, 0, v87, s[8:9]
	v_cndmask_b32_e64 v83, 0, v88, s[10:11]
	v_cmp_nlt_f32_e32 vcc, s38, v54
	v_cndmask_b32_e64 v85, v69, v84, s[0:1]
	v_cmp_nlt_f32_e64 s[0:1], s38, v55
	v_cndmask_b32_e64 v84, v69, v53, s[2:3]
	v_cndmask_b32_e64 v37, v69, v37, s[0:1]
	v_cndmask_b32_e32 v53, v69, v83, vcc
	v_cvt_f16_f32_e32 v86, v52
	v_cvt_f16_f32_e32 v87, v36
	v_pk_add_f32 v[54:55], v[52:53], v[36:37]
	v_cvt_f16_f32_e32 v36, v53
	v_cvt_f16_f32_e32 v37, v37
	;; [unrolled: 1-line block ×4, first 2 shown]
	v_pack_b32_f16 v36, v86, v36
	v_pack_b32_f16 v37, v87, v37
	v_pk_fma_f32 v[10:11], v[10:11], v[84:85], v[54:55]
	v_pk_mul_f16 v152, v150, v82 op_sel_hi:[0,1]
	ds_write2_b32 v70, v36, v37 offset1:32
	ds_write_b128 v62, v[0:3]
	ds_write_b128 v63, v[4:7]
	s_waitcnt lgkmcnt(0)
	s_barrier
	ds_read2_b64 v[0:3], v64 offset1:32
	ds_read2_b64 v[4:7], v64 offset0:64 offset1:96
	ds_read_b128 v[52:55], v61
	ds_read_b128 v[82:85], v61 offset:16
	ds_read2_b64 v[86:89], v64 offset0:128 offset1:160
	ds_read2_b64 v[90:93], v64 offset0:192 offset1:224
	ds_read2_b64 v[94:97], v71 offset1:32
	ds_read2_b64 v[98:101], v71 offset0:64 offset1:96
	ds_read2_b64 v[102:105], v71 offset0:128 offset1:160
	ds_read2_b64 v[106:109], v71 offset0:192 offset1:224
	ds_read2_b64 v[110:113], v72 offset1:32
	ds_read2_b64 v[114:117], v72 offset0:64 offset1:96
	;; [unrolled: 4-line block ×3, first 2 shown]
	ds_read2_b64 v[134:137], v73 offset0:128 offset1:160
	ds_read2_b64 v[138:141], v73 offset0:192 offset1:224
	s_waitcnt lgkmcnt(0)
	s_barrier
	global_load_dwordx4 v[142:145], v[50:51], off
	global_load_dwordx4 v[146:149], v[50:51], off offset:512
	v_pk_mul_f16 v32, v150, v32 op_sel_hi:[0,1]
	v_pk_mul_f16 v81, v150, v81 op_sel_hi:[0,1]
	;; [unrolled: 1-line block ×13, first 2 shown]
	v_pk_mul_f16 v0, v0, v52 op_sel:[0,1]
	v_pk_mul_f16 v37, v1, v52 op_sel_hi:[1,0]
	v_pk_fma_f16 v1, v1, v52, v24 op_sel:[0,1,0]
	v_pk_fma_f16 v24, v2, v52, v152 op_sel_hi:[1,0,1]
	v_pk_fma_f16 v2, v2, v52, v78 op_sel:[0,1,0]
	v_pk_fma_f16 v32, v3, v52, v32 op_sel_hi:[1,0,1]
	;; [unrolled: 2-line block ×7, first 2 shown]
	v_pk_fma_f16 v0, v151, v77, v0 op_sel_hi:[0,1,1]
	v_pk_fma_f16 v28, v150, v28, v37 op_sel_hi:[0,1,1]
	v_pk_fma_f16 v1, v87, v53, v1 op_sel:[0,1,0]
	v_pk_fma_f16 v24, v88, v53, v24 op_sel_hi:[1,0,1]
	v_pk_fma_f16 v2, v88, v53, v2 op_sel:[0,1,0]
	;; [unrolled: 2-line block ×56, first 2 shown]
	v_pk_fma_f16 v28, v135, v85, v28 op_sel_hi:[1,0,1]
	s_waitcnt vmcnt(1)
	ds_write_b128 v62, v[142:145]
	s_waitcnt vmcnt(0)
	ds_write_b128 v63, v[146:149]
	s_waitcnt lgkmcnt(0)
	s_barrier
	ds_read2_b64 v[0:3], v64 offset1:32
	ds_read2_b64 v[4:7], v64 offset0:64 offset1:96
	ds_read_b128 v[50:53], v61 offset:32
	ds_read_b128 v[74:77], v61 offset:48
	ds_read2_b64 v[78:81], v64 offset0:128 offset1:160
	ds_read2_b64 v[82:85], v64 offset0:192 offset1:224
	ds_read2_b64 v[86:89], v71 offset1:32
	ds_read2_b64 v[90:93], v71 offset0:64 offset1:96
	ds_read2_b64 v[94:97], v71 offset0:128 offset1:160
	ds_read2_b64 v[98:101], v71 offset0:192 offset1:224
	ds_read2_b64 v[102:105], v72 offset1:32
	ds_read2_b64 v[106:109], v72 offset0:64 offset1:96
	ds_read2_b64 v[110:113], v72 offset0:128 offset1:160
	ds_read2_b64 v[114:117], v72 offset0:192 offset1:224
	ds_read2_b64 v[118:121], v73 offset1:32
	ds_read2_b64 v[122:125], v73 offset0:64 offset1:96
	ds_read2_b64 v[126:129], v73 offset0:128 offset1:160
	ds_read2_b64 v[130:133], v73 offset0:192 offset1:224
	s_waitcnt lgkmcnt(0)
	s_barrier
	global_load_dwordx4 v[134:137], v[48:49], off
	global_load_dwordx4 v[138:141], v[48:49], off offset:512
	v_pk_fma_f16 v36, v0, v50, v36 op_sel_hi:[1,0,1]
	v_pk_fma_f16 v0, v0, v50, v154 op_sel:[0,1,0]
	v_pk_fma_f16 v28, v1, v50, v28 op_sel_hi:[1,0,1]
	v_pk_fma_f16 v1, v1, v50, v37 op_sel:[0,1,0]
	;; [unrolled: 2-line block ×64, first 2 shown]
	s_waitcnt vmcnt(1)
	ds_write_b128 v62, v[134:137]
	s_waitcnt vmcnt(0)
	ds_write_b128 v63, v[138:141]
	s_waitcnt lgkmcnt(0)
	s_barrier
	ds_read2_b64 v[0:3], v64 offset1:32
	ds_read2_b64 v[4:7], v64 offset0:64 offset1:96
	ds_read_b128 v[48:51], v61 offset:64
	ds_read_b128 v[52:55], v61 offset:80
	ds_read2_b64 v[74:77], v64 offset0:128 offset1:160
	ds_read2_b64 v[78:81], v64 offset0:192 offset1:224
	ds_read2_b64 v[82:85], v71 offset1:32
	ds_read2_b64 v[86:89], v71 offset0:64 offset1:96
	ds_read2_b64 v[90:93], v71 offset0:128 offset1:160
	ds_read2_b64 v[94:97], v71 offset0:192 offset1:224
	ds_read2_b64 v[98:101], v72 offset1:32
	ds_read2_b64 v[102:105], v72 offset0:64 offset1:96
	;; [unrolled: 4-line block ×3, first 2 shown]
	ds_read2_b64 v[122:125], v73 offset0:128 offset1:160
	ds_read2_b64 v[126:129], v73 offset0:192 offset1:224
	s_waitcnt lgkmcnt(0)
	s_barrier
	global_load_dwordx4 v[130:133], v[46:47], off
	global_load_dwordx4 v[134:137], v[46:47], off offset:512
	v_pk_fma_f16 v36, v0, v48, v36 op_sel_hi:[1,0,1]
	v_pk_fma_f16 v0, v0, v48, v37 op_sel:[0,1,0]
	v_pk_fma_f16 v28, v1, v48, v28 op_sel_hi:[1,0,1]
	v_pk_fma_f16 v1, v1, v48, v142 op_sel:[0,1,0]
	;; [unrolled: 2-line block ×64, first 2 shown]
	s_waitcnt vmcnt(1)
	ds_write_b128 v62, v[130:133]
	s_waitcnt vmcnt(0)
	ds_write_b128 v63, v[134:137]
	s_waitcnt lgkmcnt(0)
	s_barrier
	ds_read2_b64 v[0:3], v64 offset1:32
	ds_read2_b64 v[4:7], v64 offset0:64 offset1:96
	ds_read_b128 v[46:49], v61 offset:96
	ds_read_b128 v[50:53], v61 offset:112
	ds_read2_b64 v[74:77], v64 offset0:128 offset1:160
	ds_read2_b64 v[78:81], v64 offset0:192 offset1:224
	ds_read2_b64 v[82:85], v71 offset1:32
	ds_read2_b64 v[86:89], v71 offset0:64 offset1:96
	ds_read2_b64 v[90:93], v71 offset0:128 offset1:160
	ds_read2_b64 v[94:97], v71 offset0:192 offset1:224
	ds_read2_b64 v[98:101], v72 offset1:32
	ds_read2_b64 v[102:105], v72 offset0:64 offset1:96
	;; [unrolled: 4-line block ×3, first 2 shown]
	ds_read2_b64 v[122:125], v73 offset0:128 offset1:160
	ds_read2_b64 v[126:129], v73 offset0:192 offset1:224
	s_waitcnt lgkmcnt(0)
	s_barrier
	global_load_dwordx4 v[130:133], v[44:45], off
	global_load_dwordx4 v[134:137], v[44:45], off offset:512
	v_pk_fma_f16 v36, v0, v46, v36 op_sel_hi:[1,0,1]
	v_pk_fma_f16 v0, v0, v46, v37 op_sel:[0,1,0]
	v_pk_fma_f16 v28, v1, v46, v28 op_sel_hi:[1,0,1]
	v_pk_fma_f16 v1, v1, v46, v54 op_sel:[0,1,0]
	;; [unrolled: 2-line block ×64, first 2 shown]
	s_waitcnt vmcnt(1)
	ds_write_b128 v62, v[130:133]
	s_waitcnt vmcnt(0)
	ds_write_b128 v63, v[134:137]
	s_waitcnt lgkmcnt(0)
	s_barrier
	ds_read2_b64 v[0:3], v64 offset1:32
	ds_read2_b64 v[4:7], v64 offset0:64 offset1:96
	ds_read_b128 v[44:47], v61 offset:128
	ds_read_b128 v[48:51], v61 offset:144
	ds_read2_b64 v[52:55], v64 offset0:128 offset1:160
	ds_read2_b64 v[74:77], v64 offset0:192 offset1:224
	ds_read2_b64 v[78:81], v71 offset1:32
	ds_read2_b64 v[82:85], v71 offset0:64 offset1:96
	ds_read2_b64 v[86:89], v71 offset0:128 offset1:160
	ds_read2_b64 v[90:93], v71 offset0:192 offset1:224
	ds_read2_b64 v[94:97], v72 offset1:32
	ds_read2_b64 v[98:101], v72 offset0:64 offset1:96
	;; [unrolled: 4-line block ×3, first 2 shown]
	ds_read2_b64 v[118:121], v73 offset0:128 offset1:160
	ds_read2_b64 v[122:125], v73 offset0:192 offset1:224
	s_waitcnt lgkmcnt(0)
	s_barrier
	global_load_dwordx4 v[126:129], v[42:43], off
	global_load_dwordx4 v[130:133], v[42:43], off offset:512
	v_pk_fma_f16 v36, v0, v44, v36 op_sel_hi:[1,0,1]
	v_pk_fma_f16 v0, v0, v44, v37 op_sel:[0,1,0]
	v_pk_fma_f16 v28, v1, v44, v28 op_sel_hi:[1,0,1]
	v_pk_fma_f16 v1, v1, v44, v138 op_sel:[0,1,0]
	v_pk_fma_f16 v24, v2, v44, v24 op_sel_hi:[1,0,1]
	v_pk_fma_f16 v2, v2, v44, v139 op_sel:[0,1,0]
	v_pk_fma_f16 v32, v3, v44, v32 op_sel_hi:[1,0,1]
	v_pk_fma_f16 v3, v3, v44, v140 op_sel:[0,1,0]
	v_pk_fma_f16 v22, v4, v44, v22 op_sel_hi:[1,0,1]
	v_pk_fma_f16 v4, v4, v44, v141 op_sel:[0,1,0]
	v_pk_fma_f16 v30, v5, v44, v30 op_sel_hi:[1,0,1]
	v_pk_fma_f16 v5, v5, v44, v142 op_sel:[0,1,0]
	v_pk_fma_f16 v20, v6, v44, v20 op_sel_hi:[1,0,1]
	v_pk_fma_f16 v6, v6, v44, v143 op_sel:[0,1,0]
	v_pk_fma_f16 v26, v7, v44, v26 op_sel_hi:[1,0,1]
	v_pk_fma_f16 v7, v7, v44, v144 op_sel:[0,1,0]
	v_pk_fma_f16 v36, v52, v45, v36 op_sel_hi:[1,0,1]
	v_pk_fma_f16 v0, v52, v45, v0 op_sel:[0,1,0]
	v_pk_fma_f16 v28, v53, v45, v28 op_sel_hi:[1,0,1]
	v_pk_fma_f16 v1, v53, v45, v1 op_sel:[0,1,0]
	v_pk_fma_f16 v24, v54, v45, v24 op_sel_hi:[1,0,1]
	v_pk_fma_f16 v2, v54, v45, v2 op_sel:[0,1,0]
	v_pk_fma_f16 v32, v55, v45, v32 op_sel_hi:[1,0,1]
	v_pk_fma_f16 v3, v55, v45, v3 op_sel:[0,1,0]
	v_pk_fma_f16 v22, v74, v45, v22 op_sel_hi:[1,0,1]
	v_pk_fma_f16 v4, v74, v45, v4 op_sel:[0,1,0]
	v_pk_fma_f16 v30, v75, v45, v30 op_sel_hi:[1,0,1]
	v_pk_fma_f16 v5, v75, v45, v5 op_sel:[0,1,0]
	v_pk_fma_f16 v20, v76, v45, v20 op_sel_hi:[1,0,1]
	v_pk_fma_f16 v6, v76, v45, v6 op_sel:[0,1,0]
	v_pk_fma_f16 v26, v77, v45, v26 op_sel_hi:[1,0,1]
	v_pk_fma_f16 v7, v77, v45, v7 op_sel:[0,1,0]
	v_pk_fma_f16 v36, v78, v46, v36 op_sel_hi:[1,0,1]
	v_pk_fma_f16 v0, v78, v46, v0 op_sel:[0,1,0]
	v_pk_fma_f16 v28, v79, v46, v28 op_sel_hi:[1,0,1]
	v_pk_fma_f16 v1, v79, v46, v1 op_sel:[0,1,0]
	v_pk_fma_f16 v24, v80, v46, v24 op_sel_hi:[1,0,1]
	v_pk_fma_f16 v2, v80, v46, v2 op_sel:[0,1,0]
	v_pk_fma_f16 v32, v81, v46, v32 op_sel_hi:[1,0,1]
	v_pk_fma_f16 v3, v81, v46, v3 op_sel:[0,1,0]
	v_pk_fma_f16 v22, v82, v46, v22 op_sel_hi:[1,0,1]
	v_pk_fma_f16 v4, v82, v46, v4 op_sel:[0,1,0]
	v_pk_fma_f16 v30, v83, v46, v30 op_sel_hi:[1,0,1]
	v_pk_fma_f16 v5, v83, v46, v5 op_sel:[0,1,0]
	v_pk_fma_f16 v20, v84, v46, v20 op_sel_hi:[1,0,1]
	v_pk_fma_f16 v6, v84, v46, v6 op_sel:[0,1,0]
	v_pk_fma_f16 v26, v85, v46, v26 op_sel_hi:[1,0,1]
	v_pk_fma_f16 v7, v85, v46, v7 op_sel:[0,1,0]
	v_pk_fma_f16 v36, v86, v47, v36 op_sel_hi:[1,0,1]
	v_pk_fma_f16 v0, v86, v47, v0 op_sel:[0,1,0]
	v_pk_fma_f16 v28, v87, v47, v28 op_sel_hi:[1,0,1]
	v_pk_fma_f16 v1, v87, v47, v1 op_sel:[0,1,0]
	v_pk_fma_f16 v24, v88, v47, v24 op_sel_hi:[1,0,1]
	v_pk_fma_f16 v2, v88, v47, v2 op_sel:[0,1,0]
	v_pk_fma_f16 v32, v89, v47, v32 op_sel_hi:[1,0,1]
	v_pk_fma_f16 v3, v89, v47, v3 op_sel:[0,1,0]
	v_pk_fma_f16 v22, v90, v47, v22 op_sel_hi:[1,0,1]
	v_pk_fma_f16 v4, v90, v47, v4 op_sel:[0,1,0]
	v_pk_fma_f16 v30, v91, v47, v30 op_sel_hi:[1,0,1]
	v_pk_fma_f16 v5, v91, v47, v5 op_sel:[0,1,0]
	v_pk_fma_f16 v20, v92, v47, v20 op_sel_hi:[1,0,1]
	v_pk_fma_f16 v6, v92, v47, v6 op_sel:[0,1,0]
	v_pk_fma_f16 v26, v93, v47, v26 op_sel_hi:[1,0,1]
	v_pk_fma_f16 v7, v93, v47, v7 op_sel:[0,1,0]
	v_pk_fma_f16 v36, v94, v48, v36 op_sel_hi:[1,0,1]
	v_pk_fma_f16 v0, v94, v48, v0 op_sel:[0,1,0]
	v_pk_fma_f16 v28, v95, v48, v28 op_sel_hi:[1,0,1]
	v_pk_fma_f16 v1, v95, v48, v1 op_sel:[0,1,0]
	v_pk_fma_f16 v24, v96, v48, v24 op_sel_hi:[1,0,1]
	v_pk_fma_f16 v2, v96, v48, v2 op_sel:[0,1,0]
	v_pk_fma_f16 v32, v97, v48, v32 op_sel_hi:[1,0,1]
	v_pk_fma_f16 v3, v97, v48, v3 op_sel:[0,1,0]
	v_pk_fma_f16 v22, v98, v48, v22 op_sel_hi:[1,0,1]
	v_pk_fma_f16 v4, v98, v48, v4 op_sel:[0,1,0]
	v_pk_fma_f16 v30, v99, v48, v30 op_sel_hi:[1,0,1]
	v_pk_fma_f16 v5, v99, v48, v5 op_sel:[0,1,0]
	v_pk_fma_f16 v20, v100, v48, v20 op_sel_hi:[1,0,1]
	v_pk_fma_f16 v6, v100, v48, v6 op_sel:[0,1,0]
	v_pk_fma_f16 v26, v101, v48, v26 op_sel_hi:[1,0,1]
	v_pk_fma_f16 v7, v101, v48, v7 op_sel:[0,1,0]
	v_pk_fma_f16 v36, v102, v49, v36 op_sel_hi:[1,0,1]
	v_pk_fma_f16 v0, v102, v49, v0 op_sel:[0,1,0]
	v_pk_fma_f16 v28, v103, v49, v28 op_sel_hi:[1,0,1]
	v_pk_fma_f16 v1, v103, v49, v1 op_sel:[0,1,0]
	v_pk_fma_f16 v24, v104, v49, v24 op_sel_hi:[1,0,1]
	v_pk_fma_f16 v2, v104, v49, v2 op_sel:[0,1,0]
	v_pk_fma_f16 v32, v105, v49, v32 op_sel_hi:[1,0,1]
	v_pk_fma_f16 v3, v105, v49, v3 op_sel:[0,1,0]
	v_pk_fma_f16 v22, v106, v49, v22 op_sel_hi:[1,0,1]
	v_pk_fma_f16 v4, v106, v49, v4 op_sel:[0,1,0]
	v_pk_fma_f16 v30, v107, v49, v30 op_sel_hi:[1,0,1]
	v_pk_fma_f16 v5, v107, v49, v5 op_sel:[0,1,0]
	v_pk_fma_f16 v20, v108, v49, v20 op_sel_hi:[1,0,1]
	v_pk_fma_f16 v6, v108, v49, v6 op_sel:[0,1,0]
	v_pk_fma_f16 v26, v109, v49, v26 op_sel_hi:[1,0,1]
	v_pk_fma_f16 v7, v109, v49, v7 op_sel:[0,1,0]
	v_pk_fma_f16 v36, v110, v50, v36 op_sel_hi:[1,0,1]
	v_pk_fma_f16 v0, v110, v50, v0 op_sel:[0,1,0]
	v_pk_fma_f16 v28, v111, v50, v28 op_sel_hi:[1,0,1]
	v_pk_fma_f16 v1, v111, v50, v1 op_sel:[0,1,0]
	v_pk_fma_f16 v24, v112, v50, v24 op_sel_hi:[1,0,1]
	v_pk_fma_f16 v2, v112, v50, v2 op_sel:[0,1,0]
	v_pk_fma_f16 v32, v113, v50, v32 op_sel_hi:[1,0,1]
	v_pk_fma_f16 v3, v113, v50, v3 op_sel:[0,1,0]
	v_pk_fma_f16 v22, v114, v50, v22 op_sel_hi:[1,0,1]
	v_pk_fma_f16 v4, v114, v50, v4 op_sel:[0,1,0]
	v_pk_fma_f16 v30, v115, v50, v30 op_sel_hi:[1,0,1]
	v_pk_fma_f16 v5, v115, v50, v5 op_sel:[0,1,0]
	v_pk_fma_f16 v20, v116, v50, v20 op_sel_hi:[1,0,1]
	v_pk_fma_f16 v6, v116, v50, v6 op_sel:[0,1,0]
	v_pk_fma_f16 v26, v117, v50, v26 op_sel_hi:[1,0,1]
	v_pk_fma_f16 v7, v117, v50, v7 op_sel:[0,1,0]
	v_pk_fma_f16 v36, v118, v51, v36 op_sel_hi:[1,0,1]
	v_pk_fma_f16 v37, v118, v51, v0 op_sel:[0,1,0]
	v_pk_fma_f16 v28, v119, v51, v28 op_sel_hi:[1,0,1]
	v_pk_fma_f16 v54, v119, v51, v1 op_sel:[0,1,0]
	v_pk_fma_f16 v24, v120, v51, v24 op_sel_hi:[1,0,1]
	v_pk_fma_f16 v55, v120, v51, v2 op_sel:[0,1,0]
	v_pk_fma_f16 v32, v121, v51, v32 op_sel_hi:[1,0,1]
	v_pk_fma_f16 v134, v121, v51, v3 op_sel:[0,1,0]
	v_pk_fma_f16 v22, v122, v51, v22 op_sel_hi:[1,0,1]
	v_pk_fma_f16 v135, v122, v51, v4 op_sel:[0,1,0]
	v_pk_fma_f16 v30, v123, v51, v30 op_sel_hi:[1,0,1]
	v_pk_fma_f16 v136, v123, v51, v5 op_sel:[0,1,0]
	v_pk_fma_f16 v20, v124, v51, v20 op_sel_hi:[1,0,1]
	v_pk_fma_f16 v137, v124, v51, v6 op_sel:[0,1,0]
	v_pk_fma_f16 v26, v125, v51, v26 op_sel_hi:[1,0,1]
	v_pk_fma_f16 v138, v125, v51, v7 op_sel:[0,1,0]
	s_waitcnt vmcnt(1)
	ds_write_b128 v62, v[126:129]
	s_waitcnt vmcnt(0)
	ds_write_b128 v63, v[130:133]
	s_waitcnt lgkmcnt(0)
	s_barrier
	ds_read2_b64 v[0:3], v64 offset1:32
	ds_read2_b64 v[4:7], v64 offset0:64 offset1:96
	ds_read_b128 v[42:45], v61 offset:160
	ds_read_b128 v[46:49], v61 offset:176
	ds_read2_b64 v[50:53], v64 offset0:128 offset1:160
	ds_read2_b64 v[74:77], v64 offset0:192 offset1:224
	ds_read2_b64 v[78:81], v71 offset1:32
	ds_read2_b64 v[82:85], v71 offset0:64 offset1:96
	ds_read2_b64 v[86:89], v71 offset0:128 offset1:160
	ds_read2_b64 v[90:93], v71 offset0:192 offset1:224
	ds_read2_b64 v[94:97], v72 offset1:32
	ds_read2_b64 v[98:101], v72 offset0:64 offset1:96
	;; [unrolled: 4-line block ×3, first 2 shown]
	ds_read2_b64 v[118:121], v73 offset0:128 offset1:160
	ds_read2_b64 v[122:125], v73 offset0:192 offset1:224
	s_waitcnt lgkmcnt(0)
	s_barrier
	global_load_dwordx4 v[126:129], v[40:41], off
	global_load_dwordx4 v[130:133], v[40:41], off offset:512
	v_pk_fma_f16 v36, v0, v42, v36 op_sel_hi:[1,0,1]
	v_pk_fma_f16 v0, v0, v42, v37 op_sel:[0,1,0]
	v_pk_fma_f16 v28, v1, v42, v28 op_sel_hi:[1,0,1]
	v_pk_fma_f16 v1, v1, v42, v54 op_sel:[0,1,0]
	;; [unrolled: 2-line block ×64, first 2 shown]
	s_waitcnt vmcnt(1)
	ds_write_b128 v62, v[126:129]
	s_waitcnt vmcnt(0)
	ds_write_b128 v63, v[130:133]
	s_waitcnt lgkmcnt(0)
	s_barrier
	ds_read2_b64 v[0:3], v64 offset1:32
	ds_read2_b64 v[4:7], v64 offset0:64 offset1:96
	ds_read_b128 v[40:43], v61 offset:192
	ds_read_b128 v[44:47], v61 offset:208
	ds_read2_b64 v[48:51], v64 offset0:128 offset1:160
	ds_read2_b64 v[52:55], v64 offset0:192 offset1:224
	ds_read2_b64 v[74:77], v71 offset1:32
	ds_read2_b64 v[78:81], v71 offset0:64 offset1:96
	ds_read2_b64 v[82:85], v71 offset0:128 offset1:160
	ds_read2_b64 v[86:89], v71 offset0:192 offset1:224
	ds_read2_b64 v[90:93], v72 offset1:32
	ds_read2_b64 v[94:97], v72 offset0:64 offset1:96
	ds_read2_b64 v[98:101], v72 offset0:128 offset1:160
	ds_read2_b64 v[102:105], v72 offset0:192 offset1:224
	ds_read2_b64 v[106:109], v73 offset1:32
	ds_read2_b64 v[110:113], v73 offset0:64 offset1:96
	ds_read2_b64 v[114:117], v73 offset0:128 offset1:160
	ds_read2_b64 v[118:121], v73 offset0:192 offset1:224
	s_waitcnt lgkmcnt(0)
	s_barrier
	global_load_dwordx4 v[122:125], v[38:39], off
	s_nop 0
	global_load_dwordx4 v[36:39], v[38:39], off offset:512
	v_pk_fma_f16 v126, v0, v40, v134 op_sel_hi:[1,0,1]
	v_pk_fma_f16 v0, v0, v40, v135 op_sel:[0,1,0]
	v_pk_fma_f16 v28, v1, v40, v28 op_sel_hi:[1,0,1]
	v_pk_fma_f16 v1, v1, v40, v136 op_sel:[0,1,0]
	;; [unrolled: 2-line block ×64, first 2 shown]
	s_waitcnt vmcnt(1)
	ds_write_b128 v62, v[122:125]
	s_waitcnt vmcnt(0)
	ds_write_b128 v63, v[36:39]
	s_waitcnt lgkmcnt(0)
	s_barrier
	ds_read2_b64 v[0:3], v64 offset1:32
	ds_read2_b64 v[4:7], v64 offset0:64 offset1:96
	ds_read_b128 v[36:39], v61 offset:224
	ds_read_b128 v[40:43], v61 offset:240
	ds_read2_b64 v[44:47], v64 offset0:128 offset1:160
	ds_read2_b64 v[48:51], v64 offset0:192 offset1:224
	ds_read2_b64 v[52:55], v71 offset1:32
	ds_read2_b64 v[74:77], v71 offset0:64 offset1:96
	ds_read2_b64 v[78:81], v71 offset0:128 offset1:160
	ds_read2_b64 v[82:85], v71 offset0:192 offset1:224
	ds_read2_b64 v[86:89], v72 offset1:32
	ds_read2_b64 v[90:93], v72 offset0:64 offset1:96
	;; [unrolled: 4-line block ×3, first 2 shown]
	ds_read2_b64 v[110:113], v73 offset0:128 offset1:160
	ds_read2_b64 v[114:117], v73 offset0:192 offset1:224
	s_waitcnt lgkmcnt(0)
	s_barrier
	s_load_dword s0, s[18:19], 0x4
	v_pk_fma_f16 v122, v0, v36, v126 op_sel_hi:[1,0,1]
	v_pk_fma_f16 v0, v0, v36, v127 op_sel:[0,1,0]
	v_pk_fma_f16 v28, v1, v36, v28 op_sel_hi:[1,0,1]
	v_pk_fma_f16 v1, v1, v36, v128 op_sel:[0,1,0]
	;; [unrolled: 2-line block ×40, first 2 shown]
	s_waitcnt lgkmcnt(0)
	s_lshl_b32 s0, s0, 6
	v_pk_fma_f16 v36, v94, v41, v36 op_sel_hi:[1,0,1]
	v_pk_fma_f16 v0, v94, v41, v0 op_sel:[0,1,0]
	v_pk_fma_f16 v28, v95, v41, v28 op_sel_hi:[1,0,1]
	v_pk_fma_f16 v1, v95, v41, v1 op_sel:[0,1,0]
	;; [unrolled: 2-line block ×8, first 2 shown]
	s_add_i32 s24, s0, s24
	v_pk_fma_f16 v36, v102, v42, v36 op_sel_hi:[1,0,1]
	v_pk_fma_f16 v0, v102, v42, v0 op_sel:[0,1,0]
	v_pk_fma_f16 v28, v103, v42, v28 op_sel_hi:[1,0,1]
	v_pk_fma_f16 v1, v103, v42, v1 op_sel:[0,1,0]
	;; [unrolled: 2-line block ×8, first 2 shown]
	v_mov_b32_e32 v18, v34
	v_mov_b32_e32 v19, v35
	s_cmp_ge_i32 s24, s28
	v_pk_fma_f16 v80, v110, v43, v36 op_sel_hi:[1,0,1]
	v_pk_fma_f16 v77, v110, v43, v0 op_sel:[0,1,0]
	v_pk_fma_f16 v28, v111, v43, v28 op_sel_hi:[1,0,1]
	v_pk_fma_f16 v24, v111, v43, v1 op_sel:[0,1,0]
	v_pk_fma_f16 v82, v112, v43, v37 op_sel_hi:[1,0,1]
	v_pk_fma_f16 v78, v112, v43, v2 op_sel:[0,1,0]
	v_pk_fma_f16 v32, v113, v43, v32 op_sel_hi:[1,0,1]
	v_pk_fma_f16 v22, v113, v43, v3 op_sel:[0,1,0]
	v_pk_fma_f16 v81, v114, v43, v38 op_sel_hi:[1,0,1]
	v_pk_fma_f16 v76, v114, v43, v4 op_sel:[0,1,0]
	v_pk_fma_f16 v30, v115, v43, v30 op_sel_hi:[1,0,1]
	v_pk_fma_f16 v20, v115, v43, v5 op_sel:[0,1,0]
	v_pk_fma_f16 v79, v116, v43, v39 op_sel_hi:[1,0,1]
	v_pk_fma_f16 v75, v116, v43, v6 op_sel:[0,1,0]
	v_pk_fma_f16 v26, v117, v43, v26 op_sel_hi:[1,0,1]
	v_pk_fma_f16 v74, v117, v43, v7 op_sel:[0,1,0]
	s_cbranch_scc0 .LBB17_9
.LBB17_10:
	v_cmp_lt_i32_e32 vcc, v56, v25
	v_cndmask_b32_e32 v0, v13, v56, vcc
	v_lshlrev_b32_e32 v1, 2, v0
	ds_bpermute_b32 v0, v1, v10
	ds_bpermute_b32 v1, v1, v11
	v_cmp_lt_i32_e32 vcc, v33, v25
	v_cndmask_b32_e32 v2, v13, v33, vcc
	v_lshlrev_b32_e32 v3, 2, v2
	v_cmp_lt_i32_e32 vcc, v31, v25
	s_waitcnt lgkmcnt(0)
	v_pk_add_f32 v[0:1], v[10:11], v[0:1]
	ds_bpermute_b32 v2, v3, v0
	ds_bpermute_b32 v3, v3, v1
	v_cndmask_b32_e32 v4, v13, v31, vcc
	v_lshlrev_b32_e32 v4, 2, v4
	v_cmp_lt_i32_e32 vcc, v29, v25
	s_cmp_lg_u64 s[16:17], 0
	s_waitcnt lgkmcnt(0)
	v_pk_add_f32 v[0:1], v[0:1], v[2:3]
	ds_bpermute_b32 v2, v4, v0
	ds_bpermute_b32 v3, v4, v1
	v_cndmask_b32_e32 v4, v13, v29, vcc
	v_lshlrev_b32_e32 v4, 2, v4
	v_cmp_lt_i32_e32 vcc, v27, v25
	s_cselect_b64 s[0:1], -1, 0
	s_waitcnt lgkmcnt(0)
	v_pk_add_f32 v[0:1], v[0:1], v[2:3]
	ds_bpermute_b32 v2, v4, v0
	ds_bpermute_b32 v3, v4, v1
	v_cndmask_b32_e32 v4, v13, v27, vcc
	v_lshlrev_b32_e32 v4, 2, v4
	s_cmp_eq_u32 s7, 0
	s_cselect_b64 s[2:3], -1, 0
	s_waitcnt lgkmcnt(0)
	v_pk_add_f32 v[0:1], v[0:1], v[2:3]
	ds_bpermute_b32 v2, v4, v0
	ds_bpermute_b32 v3, v4, v1
	s_and_b64 s[0:1], s[2:3], s[0:1]
	s_and_b64 vcc, exec, s[0:1]
	s_waitcnt lgkmcnt(0)
	v_pk_add_f32 v[0:1], v[0:1], v[2:3]
	s_cbranch_vccz .LBB17_12
; %bb.11:
	v_add_u32_e32 v2, s29, v21
	v_ashrrev_i32_e32 v3, 31, v2
	v_lshlrev_b64 v[2:3], 2, v[2:3]
	v_mov_b32_e32 v4, s17
	v_add_co_u32_e32 v2, vcc, s16, v2
	v_addc_co_u32_e32 v3, vcc, v4, v3, vcc
	global_load_dwordx2 v[2:3], v[2:3], off
	v_max_f32_e32 v4, v35, v35
	v_max_f32_e32 v6, v34, v34
	s_mov_b32 s0, 0x3fb8aa3b
	s_mov_b32 s1, 0xc2ce8ed0
	;; [unrolled: 1-line block ×3, first 2 shown]
	v_mov_b32_e32 v10, 0x7f800000
	s_waitcnt vmcnt(0)
	v_max_f32_e32 v5, v3, v3
	v_max_f32_e32 v7, v2, v2
	;; [unrolled: 1-line block ×4, first 2 shown]
	v_pk_add_f32 v[6:7], v[34:35], v[4:5] neg_lo:[0,1] neg_hi:[0,1]
	v_mul_f32_e32 v11, 0x3fb8aa3b, v7
	v_pk_add_f32 v[2:3], v[2:3], v[4:5] neg_lo:[0,1] neg_hi:[0,1]
	v_mul_f32_e32 v12, 0x3fb8aa3b, v6
	v_fma_f32 v15, v7, s0, -v11
	v_rndne_f32_e32 v16, v11
	v_mul_f32_e32 v13, 0x3fb8aa3b, v3
	v_fma_f32 v17, v6, s0, -v12
	v_rndne_f32_e32 v18, v12
	v_fmac_f32_e32 v15, 0x32a5705f, v7
	v_sub_f32_e32 v11, v11, v16
	v_mul_f32_e32 v14, 0x3fb8aa3b, v2
	v_fma_f32 v19, v3, s0, -v13
	v_rndne_f32_e32 v25, v13
	v_fmac_f32_e32 v17, 0x32a5705f, v6
	v_sub_f32_e32 v12, v12, v18
	v_add_f32_e32 v11, v11, v15
	v_fma_f32 v27, v2, s0, -v14
	v_rndne_f32_e32 v29, v14
	v_cvt_i32_f32_e32 v16, v16
	v_fmac_f32_e32 v19, 0x32a5705f, v3
	v_sub_f32_e32 v13, v13, v25
	v_add_f32_e32 v12, v12, v17
	v_exp_f32_e32 v11, v11
	v_cvt_i32_f32_e32 v18, v18
	v_fmac_f32_e32 v27, 0x32a5705f, v2
	v_sub_f32_e32 v14, v14, v29
	v_add_f32_e32 v13, v13, v19
	v_exp_f32_e32 v12, v12
	v_cvt_i32_f32_e32 v25, v25
	v_add_f32_e32 v14, v14, v27
	v_exp_f32_e32 v13, v13
	v_cvt_i32_f32_e32 v29, v29
	v_exp_f32_e32 v14, v14
	v_ldexp_f32 v11, v11, v16
	v_cmp_ngt_f32_e32 vcc, s1, v7
	v_ldexp_f32 v12, v12, v18
	v_cndmask_b32_e32 v11, 0, v11, vcc
	v_cmp_ngt_f32_e32 vcc, s1, v6
	v_ldexp_f32 v13, v13, v25
	v_cndmask_b32_e32 v12, 0, v12, vcc
	;; [unrolled: 3-line block ×3, first 2 shown]
	v_cmp_ngt_f32_e32 vcc, s1, v2
	v_cndmask_b32_e32 v14, 0, v14, vcc
	v_cmp_nlt_f32_e32 vcc, s2, v7
	v_cndmask_b32_e32 v7, v10, v11, vcc
	v_cmp_nlt_f32_e32 vcc, s2, v6
	;; [unrolled: 2-line block ×4, first 2 shown]
	v_cndmask_b32_e32 v2, v10, v14, vcc
	v_cvt_f16_f32_e32 v11, v6
	v_pk_fma_f32 v[0:1], v[0:1], v[6:7], v[2:3]
	v_cvt_f16_f32_e32 v2, v7
	v_pk_mov_b32 v[34:35], v[4:5], v[4:5] op_sel:[0,1]
	v_pk_mul_f16 v80, v11, v80 op_sel_hi:[0,1]
	v_pk_mul_f16 v28, v11, v28 op_sel_hi:[0,1]
	;; [unrolled: 1-line block ×16, first 2 shown]
.LBB17_12:
	v_cmp_gt_i32_e32 vcc, s26, v9
	s_and_saveexec_b64 s[0:1], vcc
	s_cbranch_execz .LBB17_21
; %bb.13:
	s_load_dword s6, s[4:5], 0xd4
	v_mov_b32_e32 v4, 1.0
	s_waitcnt lgkmcnt(0)
	s_cmp_lg_u32 s6, 1
	s_cselect_b64 s[0:1], -1, 0
	s_cmp_eq_u32 s6, 1
	s_cselect_b64 s[2:3], -1, 0
	s_and_b64 vcc, exec, s[0:1]
	s_cbranch_vccnz .LBB17_15
; %bb.14:
	v_div_scale_f32 v2, s[4:5], v0, v0, 1.0
	v_rcp_f32_e32 v3, v2
	v_div_scale_f32 v4, vcc, 1.0, v0, 1.0
	v_fma_f32 v5, -v2, v3, 1.0
	v_fmac_f32_e32 v3, v5, v3
	v_mul_f32_e32 v5, v4, v3
	v_fma_f32 v6, -v2, v5, v4
	v_fmac_f32_e32 v5, v6, v3
	v_fma_f32 v2, -v2, v5, v4
	v_div_fmas_f32 v2, v2, v3, v5
	v_div_fixup_f32 v4, v2, v0, 1.0
.LBB17_15:
	s_mul_i32 s33, s33, s26
	v_add_u32_e32 v2, s33, v9
	v_mul_lo_u32 v2, v2, s27
	v_add3_u32 v2, s29, v21, v2
	v_mul_lo_u32 v2, s6, v2
	v_cmp_eq_u32_e32 vcc, 0, v8
	v_add_u32_e32 v2, s7, v2
	v_cvt_f32_f16_sdwa v9, v80 dst_sel:DWORD dst_unused:UNUSED_PAD src0_sel:WORD_1
	v_cvt_f32_f16_e32 v8, v80
	v_cvt_f32_f16_sdwa v13, v28 dst_sel:DWORD dst_unused:UNUSED_PAD src0_sel:WORD_1
	v_cvt_f32_f16_e32 v12, v28
	v_lshl_add_u32 v10, v2, 9, v23
	v_mov_b32_e32 v11, 0
	v_lshlrev_b64 v[6:7], 2, v[10:11]
	s_and_b64 s[0:1], vcc, s[0:1]
	v_mov_b32_e32 v3, s21
	v_add_co_u32_e32 v14, vcc, s20, v6
	v_addc_co_u32_e32 v15, vcc, v3, v7, vcc
	v_pk_mul_f32 v[6:7], v[4:5], v[8:9] op_sel_hi:[0,1]
	v_pk_mul_f32 v[8:9], v[4:5], v[12:13] op_sel_hi:[0,1]
	global_store_dwordx4 v[14:15], v[6:9], off
	v_cvt_f32_f16_sdwa v13, v32 dst_sel:DWORD dst_unused:UNUSED_PAD src0_sel:WORD_1
	v_cvt_f32_f16_sdwa v9, v82 dst_sel:DWORD dst_unused:UNUSED_PAD src0_sel:WORD_1
	v_cvt_f32_f16_e32 v8, v82
	v_cvt_f32_f16_e32 v12, v32
	v_add_u32_e32 v6, 0x80, v10
	v_mov_b32_e32 v7, v11
	v_lshlrev_b64 v[6:7], 2, v[6:7]
	v_add_co_u32_e32 v14, vcc, s20, v6
	v_addc_co_u32_e32 v15, vcc, v3, v7, vcc
	v_pk_mul_f32 v[6:7], v[4:5], v[8:9] op_sel_hi:[0,1]
	v_pk_mul_f32 v[8:9], v[4:5], v[12:13] op_sel_hi:[0,1]
	global_store_dwordx4 v[14:15], v[6:9], off
	v_cvt_f32_f16_sdwa v13, v30 dst_sel:DWORD dst_unused:UNUSED_PAD src0_sel:WORD_1
	v_cvt_f32_f16_sdwa v9, v81 dst_sel:DWORD dst_unused:UNUSED_PAD src0_sel:WORD_1
	v_cvt_f32_f16_e32 v8, v81
	v_cvt_f32_f16_e32 v12, v30
	v_add_u32_e32 v6, 0x100, v10
	v_mov_b32_e32 v7, v11
	v_lshlrev_b64 v[6:7], 2, v[6:7]
	v_add_co_u32_e32 v14, vcc, s20, v6
	v_addc_co_u32_e32 v15, vcc, v3, v7, vcc
	v_pk_mul_f32 v[6:7], v[4:5], v[8:9] op_sel_hi:[0,1]
	v_pk_mul_f32 v[8:9], v[4:5], v[12:13] op_sel_hi:[0,1]
	v_add_u32_e32 v10, 0x180, v10
	global_store_dwordx4 v[14:15], v[6:9], off
	s_nop 0
	v_lshlrev_b64 v[6:7], 2, v[10:11]
	v_cvt_f32_f16_sdwa v9, v79 dst_sel:DWORD dst_unused:UNUSED_PAD src0_sel:WORD_1
	v_cvt_f32_f16_e32 v8, v79
	v_cvt_f32_f16_sdwa v11, v26 dst_sel:DWORD dst_unused:UNUSED_PAD src0_sel:WORD_1
	v_cvt_f32_f16_e32 v10, v26
	v_add_co_u32_e32 v12, vcc, s20, v6
	v_addc_co_u32_e32 v13, vcc, v3, v7, vcc
	v_pk_mul_f32 v[6:7], v[4:5], v[8:9] op_sel_hi:[0,1]
	v_pk_mul_f32 v[8:9], v[4:5], v[10:11] op_sel_hi:[0,1]
	global_store_dwordx4 v[12:13], v[6:9], off
	s_and_saveexec_b64 s[4:5], s[0:1]
	s_cbranch_execz .LBB17_17
; %bb.16:
	v_ashrrev_i32_e32 v3, 31, v2
	v_lshlrev_b64 v[4:5], 3, v[2:3]
	v_mov_b32_e32 v3, s23
	v_add_co_u32_e32 v4, vcc, s22, v4
	v_addc_co_u32_e32 v5, vcc, v3, v5, vcc
	v_mov_b32_e32 v6, v34
	v_mov_b32_e32 v7, v0
	global_store_dwordx2 v[4:5], v[6:7], off
.LBB17_17:
	s_or_b64 exec, exec, s[4:5]
	s_andn2_b64 vcc, exec, s[2:3]
	v_mov_b32_e32 v0, 1.0
	s_cbranch_vccnz .LBB17_19
; %bb.18:
	v_div_scale_f32 v0, s[2:3], v1, v1, 1.0
	v_rcp_f32_e32 v3, v0
	v_div_scale_f32 v4, vcc, 1.0, v1, 1.0
	v_fma_f32 v5, -v0, v3, 1.0
	v_fmac_f32_e32 v3, v5, v3
	v_mul_f32_e32 v5, v4, v3
	v_fma_f32 v6, -v0, v5, v4
	v_fmac_f32_e32 v5, v6, v3
	v_fma_f32 v0, -v0, v5, v4
	v_div_fmas_f32 v0, v0, v3, v5
	v_div_fixup_f32 v0, v0, v1, 1.0
.LBB17_19:
	v_add_u32_e32 v2, s6, v2
	v_cvt_f32_f16_sdwa v7, v77 dst_sel:DWORD dst_unused:UNUSED_PAD src0_sel:WORD_1
	v_cvt_f32_f16_e32 v6, v77
	v_cvt_f32_f16_sdwa v11, v24 dst_sel:DWORD dst_unused:UNUSED_PAD src0_sel:WORD_1
	v_cvt_f32_f16_e32 v10, v24
	v_lshl_add_u32 v8, v2, 9, v23
	v_mov_b32_e32 v9, 0
	v_lshlrev_b64 v[4:5], 2, v[8:9]
	v_mov_b32_e32 v3, s21
	v_add_co_u32_e32 v12, vcc, s20, v4
	v_addc_co_u32_e32 v13, vcc, v3, v5, vcc
	v_pk_mul_f32 v[4:5], v[0:1], v[6:7] op_sel_hi:[0,1]
	v_pk_mul_f32 v[6:7], v[0:1], v[10:11] op_sel_hi:[0,1]
	global_store_dwordx4 v[12:13], v[4:7], off
	v_cvt_f32_f16_sdwa v11, v22 dst_sel:DWORD dst_unused:UNUSED_PAD src0_sel:WORD_1
	v_cvt_f32_f16_sdwa v7, v78 dst_sel:DWORD dst_unused:UNUSED_PAD src0_sel:WORD_1
	v_cvt_f32_f16_e32 v6, v78
	v_cvt_f32_f16_e32 v10, v22
	v_add_u32_e32 v4, 0x80, v8
	v_mov_b32_e32 v5, v9
	v_lshlrev_b64 v[4:5], 2, v[4:5]
	v_add_co_u32_e32 v12, vcc, s20, v4
	v_addc_co_u32_e32 v13, vcc, v3, v5, vcc
	v_pk_mul_f32 v[4:5], v[0:1], v[6:7] op_sel_hi:[0,1]
	v_pk_mul_f32 v[6:7], v[0:1], v[10:11] op_sel_hi:[0,1]
	global_store_dwordx4 v[12:13], v[4:7], off
	v_cvt_f32_f16_sdwa v11, v20 dst_sel:DWORD dst_unused:UNUSED_PAD src0_sel:WORD_1
	v_cvt_f32_f16_sdwa v7, v76 dst_sel:DWORD dst_unused:UNUSED_PAD src0_sel:WORD_1
	v_cvt_f32_f16_e32 v6, v76
	v_cvt_f32_f16_e32 v10, v20
	v_add_u32_e32 v4, 0x100, v8
	v_mov_b32_e32 v5, v9
	v_lshlrev_b64 v[4:5], 2, v[4:5]
	v_add_co_u32_e32 v12, vcc, s20, v4
	v_addc_co_u32_e32 v13, vcc, v3, v5, vcc
	v_pk_mul_f32 v[4:5], v[0:1], v[6:7] op_sel_hi:[0,1]
	v_pk_mul_f32 v[6:7], v[0:1], v[10:11] op_sel_hi:[0,1]
	v_add_u32_e32 v8, 0x180, v8
	global_store_dwordx4 v[12:13], v[4:7], off
	s_nop 0
	v_lshlrev_b64 v[4:5], 2, v[8:9]
	v_cvt_f32_f16_sdwa v7, v75 dst_sel:DWORD dst_unused:UNUSED_PAD src0_sel:WORD_1
	v_cvt_f32_f16_e32 v6, v75
	v_cvt_f32_f16_sdwa v9, v74 dst_sel:DWORD dst_unused:UNUSED_PAD src0_sel:WORD_1
	v_cvt_f32_f16_e32 v8, v74
	v_add_co_u32_e32 v10, vcc, s20, v4
	v_addc_co_u32_e32 v11, vcc, v3, v5, vcc
	v_pk_mul_f32 v[4:5], v[0:1], v[6:7] op_sel_hi:[0,1]
	v_pk_mul_f32 v[6:7], v[0:1], v[8:9] op_sel_hi:[0,1]
	global_store_dwordx4 v[10:11], v[4:7], off
	s_and_b64 exec, exec, s[0:1]
	s_cbranch_execz .LBB17_21
; %bb.20:
	v_ashrrev_i32_e32 v3, 31, v2
	v_lshlrev_b64 v[2:3], 3, v[2:3]
	v_mov_b32_e32 v0, s23
	v_add_co_u32_e32 v2, vcc, s22, v2
	v_addc_co_u32_e32 v3, vcc, v0, v3, vcc
	v_mov_b32_e32 v0, v35
	global_store_dwordx2 v[2:3], v[0:1], off
.LBB17_21:
	s_endpgm
	.section	.rodata,"a",@progbits
	.p2align	6, 0x0
	.amdhsa_kernel _ZL15flash_attn_tileILi512ELi512ELi4ELi4ELb0EEvPKcS1_S1_S1_S1_PKiPfP15HIP_vector_typeIfLj2EEffffjfiS5_IjLj3EEiiiiiiiiiiiliiliiiiil
		.amdhsa_group_segment_fixed_size 27648
		.amdhsa_private_segment_fixed_size 0
		.amdhsa_kernarg_size 464
		.amdhsa_user_sgpr_count 6
		.amdhsa_user_sgpr_private_segment_buffer 1
		.amdhsa_user_sgpr_dispatch_ptr 0
		.amdhsa_user_sgpr_queue_ptr 0
		.amdhsa_user_sgpr_kernarg_segment_ptr 1
		.amdhsa_user_sgpr_dispatch_id 0
		.amdhsa_user_sgpr_flat_scratch_init 0
		.amdhsa_user_sgpr_kernarg_preload_length 0
		.amdhsa_user_sgpr_kernarg_preload_offset 0
		.amdhsa_user_sgpr_private_segment_size 0
		.amdhsa_uses_dynamic_stack 0
		.amdhsa_system_sgpr_private_segment_wavefront_offset 0
		.amdhsa_system_sgpr_workgroup_id_x 1
		.amdhsa_system_sgpr_workgroup_id_y 1
		.amdhsa_system_sgpr_workgroup_id_z 1
		.amdhsa_system_sgpr_workgroup_info 0
		.amdhsa_system_vgpr_workitem_id 1
		.amdhsa_next_free_vgpr 155
		.amdhsa_next_free_sgpr 46
		.amdhsa_accum_offset 156
		.amdhsa_reserve_vcc 1
		.amdhsa_reserve_flat_scratch 0
		.amdhsa_float_round_mode_32 0
		.amdhsa_float_round_mode_16_64 0
		.amdhsa_float_denorm_mode_32 3
		.amdhsa_float_denorm_mode_16_64 3
		.amdhsa_dx10_clamp 1
		.amdhsa_ieee_mode 1
		.amdhsa_fp16_overflow 0
		.amdhsa_tg_split 0
		.amdhsa_exception_fp_ieee_invalid_op 0
		.amdhsa_exception_fp_denorm_src 0
		.amdhsa_exception_fp_ieee_div_zero 0
		.amdhsa_exception_fp_ieee_overflow 0
		.amdhsa_exception_fp_ieee_underflow 0
		.amdhsa_exception_fp_ieee_inexact 0
		.amdhsa_exception_int_div_zero 0
	.end_amdhsa_kernel
	.section	.text._ZL15flash_attn_tileILi512ELi512ELi4ELi4ELb0EEvPKcS1_S1_S1_S1_PKiPfP15HIP_vector_typeIfLj2EEffffjfiS5_IjLj3EEiiiiiiiiiiiliiliiiiil,"axG",@progbits,_ZL15flash_attn_tileILi512ELi512ELi4ELi4ELb0EEvPKcS1_S1_S1_S1_PKiPfP15HIP_vector_typeIfLj2EEffffjfiS5_IjLj3EEiiiiiiiiiiiliiliiiiil,comdat
.Lfunc_end17:
	.size	_ZL15flash_attn_tileILi512ELi512ELi4ELi4ELb0EEvPKcS1_S1_S1_S1_PKiPfP15HIP_vector_typeIfLj2EEffffjfiS5_IjLj3EEiiiiiiiiiiiliiliiiiil, .Lfunc_end17-_ZL15flash_attn_tileILi512ELi512ELi4ELi4ELb0EEvPKcS1_S1_S1_S1_PKiPfP15HIP_vector_typeIfLj2EEffffjfiS5_IjLj3EEiiiiiiiiiiiliiliiiiil
                                        ; -- End function
	.section	.AMDGPU.csdata,"",@progbits
; Kernel info:
; codeLenInByte = 26344
; NumSgprs: 50
; NumVgprs: 155
; NumAgprs: 0
; TotalNumVgprs: 155
; ScratchSize: 0
; MemoryBound: 0
; FloatMode: 240
; IeeeMode: 1
; LDSByteSize: 27648 bytes/workgroup (compile time only)
; SGPRBlocks: 6
; VGPRBlocks: 19
; NumSGPRsForWavesPerEU: 50
; NumVGPRsForWavesPerEU: 155
; AccumOffset: 156
; Occupancy: 2
; WaveLimiterHint : 1
; COMPUTE_PGM_RSRC2:SCRATCH_EN: 0
; COMPUTE_PGM_RSRC2:USER_SGPR: 6
; COMPUTE_PGM_RSRC2:TRAP_HANDLER: 0
; COMPUTE_PGM_RSRC2:TGID_X_EN: 1
; COMPUTE_PGM_RSRC2:TGID_Y_EN: 1
; COMPUTE_PGM_RSRC2:TGID_Z_EN: 1
; COMPUTE_PGM_RSRC2:TIDIG_COMP_CNT: 1
; COMPUTE_PGM_RSRC3_GFX90A:ACCUM_OFFSET: 38
; COMPUTE_PGM_RSRC3_GFX90A:TG_SPLIT: 0
	.section	.text._ZL33flash_attn_stream_k_fixup_uniformILi512ELi4ELi4EEvPfPK15HIP_vector_typeIfLj2EEiiiiiiS1_IjLj3EES5_S5_,"axG",@progbits,_ZL33flash_attn_stream_k_fixup_uniformILi512ELi4ELi4EEvPfPK15HIP_vector_typeIfLj2EEiiiiiiS1_IjLj3EES5_S5_,comdat
	.globl	_ZL33flash_attn_stream_k_fixup_uniformILi512ELi4ELi4EEvPfPK15HIP_vector_typeIfLj2EEiiiiiiS1_IjLj3EES5_S5_ ; -- Begin function _ZL33flash_attn_stream_k_fixup_uniformILi512ELi4ELi4EEvPfPK15HIP_vector_typeIfLj2EEiiiiiiS1_IjLj3EES5_S5_
	.p2align	8
	.type	_ZL33flash_attn_stream_k_fixup_uniformILi512ELi4ELi4EEvPfPK15HIP_vector_typeIfLj2EEiiiiiiS1_IjLj3EES5_S5_,@function
_ZL33flash_attn_stream_k_fixup_uniformILi512ELi4ELi4EEvPfPK15HIP_vector_typeIfLj2EEiiiiiiS1_IjLj3EES5_S5_: ; @_ZL33flash_attn_stream_k_fixup_uniformILi512ELi4ELi4EEvPfPK15HIP_vector_typeIfLj2EEiiiiiiS1_IjLj3EES5_S5_
; %bb.0:
	s_load_dwordx8 s[12:19], s[4:5], 0x1c
	s_load_dwordx2 s[10:11], s[4:5], 0x10
	s_load_dwordx4 s[0:3], s[4:5], 0x3c
	s_waitcnt lgkmcnt(0)
	s_mul_hi_u32 s9, s15, s6
	s_add_i32 s9, s6, s9
	s_lshr_b32 s9, s9, s16
	s_mul_i32 s15, s9, s17
	s_sub_i32 s15, s6, s15
	s_mul_hi_u32 s16, s15, s18
	s_add_i32 s16, s15, s16
	s_lshr_b32 s16, s16, s19
	s_mul_i32 s0, s16, s0
	s_sub_i32 s0, s15, s0
	;; [unrolled: 5-line block ×3, first 2 shown]
	s_lshl_b32 s0, s17, 2
	s_lshl_b32 s15, s1, 2
	s_add_i32 s0, s0, s7
	s_cmp_lt_i32 s0, s10
	s_cselect_b64 s[0:1], -1, 0
	s_add_i32 s2, s15, s8
	s_cmp_lt_i32 s2, s13
	s_cselect_b64 s[2:3], -1, 0
	s_and_b64 s[0:1], s[0:1], s[2:3]
	s_andn2_b64 vcc, exec, s[0:1]
	s_cbranch_vccnz .LBB18_6
; %bb.1:
	s_load_dwordx4 s[0:3], s[4:5], 0x0
	s_mul_i32 s4, s9, s10
	s_add_i32 s4, s4, s7
	s_mul_i32 s4, s4, s11
	s_mul_i32 s16, s16, s13
	s_add_i32 s4, s4, s8
	s_add_i32 s4, s4, s16
	s_mul_i32 s5, s11, s17
	s_add_i32 s4, s4, s15
	s_lshl_b32 s5, s5, 11
	s_lshl_b32 s4, s4, 9
	s_add_i32 s5, s5, s4
	v_or_b32_e32 v2, s5, v0
	v_ashrrev_i32_e32 v3, 31, v2
	v_lshlrev_b64 v[2:3], 2, v[2:3]
	s_waitcnt lgkmcnt(0)
	v_mov_b32_e32 v1, s1
	v_add_co_u32_e32 v2, vcc, s0, v2
	v_addc_co_u32_e32 v3, vcc, v1, v3, vcc
	global_load_dword v8, v[2:3], off
	s_mul_i32 s9, s6, s14
	s_lshl_b32 s4, s7, 2
	s_add_i32 s11, s9, s14
	s_add_i32 s0, s4, s8
	s_lshl_b32 s1, s11, 4
	s_add_i32 s0, s0, s1
	s_add_i32 s0, s0, -16
	s_ashr_i32 s1, s0, 31
	s_lshl_b64 s[0:1], s[0:1], 3
	s_add_u32 s0, s2, s0
	s_addc_u32 s1, s3, s1
	s_load_dword s5, s[0:1], 0x4
	s_add_i32 s10, s11, -2
	s_cmp_lt_i32 s10, s9
	s_cbranch_scc1 .LBB18_4
; %bb.2:
	s_lshl_b32 s16, s12, 6
	s_ashr_i32 s17, s16, 31
	s_lshl_b64 s[16:17], s[16:17], 2
	s_add_u32 s10, s2, s16
	s_addc_u32 s13, s3, s17
	s_add_i32 s6, s6, 1
	s_load_dword s0, s[0:1], 0x0
	s_mul_i32 s1, s14, s6
	s_lshl_b32 s7, s7, 11
	s_lshl_b32 s14, s8, 9
	s_lshl_b32 s6, s1, 13
	s_add_i32 s7, s14, s7
	s_lshl_b32 s1, s1, 4
	s_add_i32 s7, s7, s6
	s_add_i32 s1, s8, s1
	s_lshl_b32 s6, s12, 4
	s_add_i32 s1, s1, s6
	v_or_b32_e32 v0, s7, v0
	s_add_i32 s1, s1, s4
	s_add_i32 s11, s11, -1
	v_add_u32_e32 v0, 0xffffc000, v0
	s_sub_i32 s4, s1, 32
	s_waitcnt lgkmcnt(0)
	v_mov_b32_e32 v7, s5
	v_mov_b32_e32 v6, s0
	;; [unrolled: 1-line block ×3, first 2 shown]
	s_mov_b32 s6, 0x3fb8aa3b
	s_mov_b32 s7, 0xc2ce8ed0
	;; [unrolled: 1-line block ×3, first 2 shown]
	v_mov_b32_e32 v5, 0x7f800000
	s_mov_b32 s12, 0xc1a00000
.LBB18_3:                               ; =>This Inner Loop Header: Depth=1
	v_ashrrev_i32_e32 v1, 31, v0
	v_lshlrev_b64 v[10:11], 2, v[0:1]
	v_add_co_u32_e32 v10, vcc, s10, v10
	v_addc_co_u32_e32 v11, vcc, v4, v11, vcc
	global_load_dword v1, v[10:11], off
	s_ashr_i32 s5, s4, 31
	s_lshl_b64 s[0:1], s[4:5], 3
	s_add_u32 s0, s2, s0
	s_addc_u32 s1, s3, s1
	s_load_dwordx2 s[14:15], s[0:1], 0x0
	s_waitcnt vmcnt(1)
	v_mov_b32_e32 v9, v8
	v_max_f32_e32 v8, v6, v6
	v_mov_b32_e32 v10, v7
	s_add_i32 s11, s11, -1
	s_waitcnt lgkmcnt(0)
	v_max_f32_e64 v7, s14, s14
	v_max_f32_e32 v7, v8, v7
	v_sub_f32_e32 v11, s14, v7
	v_sub_f32_e32 v8, v6, v7
	v_mul_f32_e32 v12, 0x3fb8aa3b, v11
	v_mov_b32_e32 v6, v7
	v_mul_f32_e32 v7, 0x3fb8aa3b, v8
	v_fma_f32 v15, v11, s6, -v12
	v_rndne_f32_e32 v16, v12
	v_fma_f32 v13, v8, s6, -v7
	v_rndne_f32_e32 v14, v7
	v_fmac_f32_e32 v15, 0x32a5705f, v11
	v_sub_f32_e32 v12, v12, v16
	v_fmac_f32_e32 v13, 0x32a5705f, v8
	v_sub_f32_e32 v7, v7, v14
	v_add_f32_e32 v12, v12, v15
	v_cvt_i32_f32_e32 v16, v16
	v_add_f32_e32 v7, v7, v13
	v_exp_f32_e32 v12, v12
	v_cvt_i32_f32_e32 v14, v14
	v_exp_f32_e32 v7, v7
	v_cmp_ngt_f32_e32 vcc, s7, v11
	v_ldexp_f32 v12, v12, v16
	v_cmp_ngt_f32_e64 s[0:1], s7, v8
	v_ldexp_f32 v7, v7, v14
	v_cndmask_b32_e32 v12, 0, v12, vcc
	v_cmp_nlt_f32_e32 vcc, s8, v11
	v_cndmask_b32_e64 v7, 0, v7, s[0:1]
	v_cmp_nlt_f32_e64 s[0:1], s8, v8
	v_cndmask_b32_e32 v12, v5, v12, vcc
	v_cmp_le_f32_e32 vcc, s12, v11
	v_cndmask_b32_e64 v7, v5, v7, s[0:1]
	v_cmp_le_f32_e64 s[0:1], s12, v8
	v_cndmask_b32_e32 v8, 0, v12, vcc
	s_add_i32 s4, s4, -16
	v_cndmask_b32_e64 v11, 0, v7, s[0:1]
	v_mul_f32_e32 v7, s15, v8
	v_add_u32_e32 v0, 0xffffe000, v0
	s_cmp_le_i32 s11, s9
	v_fmac_f32_e32 v7, v10, v11
	s_waitcnt vmcnt(0)
	v_mul_f32_e32 v8, v1, v8
	v_fmac_f32_e32 v8, v9, v11
	s_cbranch_scc0 .LBB18_3
	s_branch .LBB18_5
.LBB18_4:
	s_waitcnt lgkmcnt(0)
	v_mov_b32_e32 v7, s5
.LBB18_5:
	s_waitcnt vmcnt(0)
	v_div_scale_f32 v0, s[0:1], v7, v7, v8
	v_rcp_f32_e32 v1, v0
	v_div_scale_f32 v4, vcc, v8, v7, v8
	v_fma_f32 v5, -v0, v1, 1.0
	v_fmac_f32_e32 v1, v5, v1
	v_mul_f32_e32 v5, v4, v1
	v_fma_f32 v6, -v0, v5, v4
	v_fmac_f32_e32 v5, v6, v1
	v_fma_f32 v0, -v0, v5, v4
	v_div_fmas_f32 v0, v0, v1, v5
	v_div_fixup_f32 v0, v0, v7, v8
	global_store_dword v[2:3], v0, off
.LBB18_6:
	s_endpgm
	.section	.rodata,"a",@progbits
	.p2align	6, 0x0
	.amdhsa_kernel _ZL33flash_attn_stream_k_fixup_uniformILi512ELi4ELi4EEvPfPK15HIP_vector_typeIfLj2EEiiiiiiS1_IjLj3EES5_S5_
		.amdhsa_group_segment_fixed_size 0
		.amdhsa_private_segment_fixed_size 0
		.amdhsa_kernarg_size 76
		.amdhsa_user_sgpr_count 6
		.amdhsa_user_sgpr_private_segment_buffer 1
		.amdhsa_user_sgpr_dispatch_ptr 0
		.amdhsa_user_sgpr_queue_ptr 0
		.amdhsa_user_sgpr_kernarg_segment_ptr 1
		.amdhsa_user_sgpr_dispatch_id 0
		.amdhsa_user_sgpr_flat_scratch_init 0
		.amdhsa_user_sgpr_kernarg_preload_length 0
		.amdhsa_user_sgpr_kernarg_preload_offset 0
		.amdhsa_user_sgpr_private_segment_size 0
		.amdhsa_uses_dynamic_stack 0
		.amdhsa_system_sgpr_private_segment_wavefront_offset 0
		.amdhsa_system_sgpr_workgroup_id_x 1
		.amdhsa_system_sgpr_workgroup_id_y 1
		.amdhsa_system_sgpr_workgroup_id_z 1
		.amdhsa_system_sgpr_workgroup_info 0
		.amdhsa_system_vgpr_workitem_id 0
		.amdhsa_next_free_vgpr 17
		.amdhsa_next_free_sgpr 20
		.amdhsa_accum_offset 20
		.amdhsa_reserve_vcc 1
		.amdhsa_reserve_flat_scratch 0
		.amdhsa_float_round_mode_32 0
		.amdhsa_float_round_mode_16_64 0
		.amdhsa_float_denorm_mode_32 3
		.amdhsa_float_denorm_mode_16_64 3
		.amdhsa_dx10_clamp 1
		.amdhsa_ieee_mode 1
		.amdhsa_fp16_overflow 0
		.amdhsa_tg_split 0
		.amdhsa_exception_fp_ieee_invalid_op 0
		.amdhsa_exception_fp_denorm_src 0
		.amdhsa_exception_fp_ieee_div_zero 0
		.amdhsa_exception_fp_ieee_overflow 0
		.amdhsa_exception_fp_ieee_underflow 0
		.amdhsa_exception_fp_ieee_inexact 0
		.amdhsa_exception_int_div_zero 0
	.end_amdhsa_kernel
	.section	.text._ZL33flash_attn_stream_k_fixup_uniformILi512ELi4ELi4EEvPfPK15HIP_vector_typeIfLj2EEiiiiiiS1_IjLj3EES5_S5_,"axG",@progbits,_ZL33flash_attn_stream_k_fixup_uniformILi512ELi4ELi4EEvPfPK15HIP_vector_typeIfLj2EEiiiiiiS1_IjLj3EES5_S5_,comdat
.Lfunc_end18:
	.size	_ZL33flash_attn_stream_k_fixup_uniformILi512ELi4ELi4EEvPfPK15HIP_vector_typeIfLj2EEiiiiiiS1_IjLj3EES5_S5_, .Lfunc_end18-_ZL33flash_attn_stream_k_fixup_uniformILi512ELi4ELi4EEvPfPK15HIP_vector_typeIfLj2EEiiiiiiS1_IjLj3EES5_S5_
                                        ; -- End function
	.section	.AMDGPU.csdata,"",@progbits
; Kernel info:
; codeLenInByte = 856
; NumSgprs: 24
; NumVgprs: 17
; NumAgprs: 0
; TotalNumVgprs: 17
; ScratchSize: 0
; MemoryBound: 0
; FloatMode: 240
; IeeeMode: 1
; LDSByteSize: 0 bytes/workgroup (compile time only)
; SGPRBlocks: 2
; VGPRBlocks: 2
; NumSGPRsForWavesPerEU: 24
; NumVGPRsForWavesPerEU: 17
; AccumOffset: 20
; Occupancy: 8
; WaveLimiterHint : 0
; COMPUTE_PGM_RSRC2:SCRATCH_EN: 0
; COMPUTE_PGM_RSRC2:USER_SGPR: 6
; COMPUTE_PGM_RSRC2:TRAP_HANDLER: 0
; COMPUTE_PGM_RSRC2:TGID_X_EN: 1
; COMPUTE_PGM_RSRC2:TGID_Y_EN: 1
; COMPUTE_PGM_RSRC2:TGID_Z_EN: 1
; COMPUTE_PGM_RSRC2:TIDIG_COMP_CNT: 0
; COMPUTE_PGM_RSRC3_GFX90A:ACCUM_OFFSET: 4
; COMPUTE_PGM_RSRC3_GFX90A:TG_SPLIT: 0
	.section	.text._ZL33flash_attn_stream_k_fixup_generalILi512ELi4ELi4EEvPfPK15HIP_vector_typeIfLj2EEiiiiS1_IjLj3EES5_S5_S5_,"axG",@progbits,_ZL33flash_attn_stream_k_fixup_generalILi512ELi4ELi4EEvPfPK15HIP_vector_typeIfLj2EEiiiiS1_IjLj3EES5_S5_S5_,comdat
	.globl	_ZL33flash_attn_stream_k_fixup_generalILi512ELi4ELi4EEvPfPK15HIP_vector_typeIfLj2EEiiiiS1_IjLj3EES5_S5_S5_ ; -- Begin function _ZL33flash_attn_stream_k_fixup_generalILi512ELi4ELi4EEvPfPK15HIP_vector_typeIfLj2EEiiiiS1_IjLj3EES5_S5_S5_
	.p2align	8
	.type	_ZL33flash_attn_stream_k_fixup_generalILi512ELi4ELi4EEvPfPK15HIP_vector_typeIfLj2EEiiiiS1_IjLj3EES5_S5_S5_,@function
_ZL33flash_attn_stream_k_fixup_generalILi512ELi4ELi4EEvPfPK15HIP_vector_typeIfLj2EEiiiiS1_IjLj3EES5_S5_S5_: ; @_ZL33flash_attn_stream_k_fixup_generalILi512ELi4ELi4EEvPfPK15HIP_vector_typeIfLj2EEiiiiS1_IjLj3EES5_S5_S5_
; %bb.0:
	s_load_dwordx4 s[12:15], s[4:5], 0x10
	s_load_dword s9, s[4:5], 0x50
	s_mov_b32 s2, 0
	s_waitcnt lgkmcnt(0)
	s_mul_hi_i32 s3, s15, s6
	s_cmp_lg_u64 s[2:3], 0
	s_mul_i32 s2, s15, s6
	s_cbranch_scc0 .LBB19_21
; %bb.1:
	v_cvt_f32_u32_e32 v1, s9
	v_cvt_f32_ubyte0_e32 v2, 0
	s_sub_u32 s10, 0, s9
	s_subb_u32 s11, 0, 0
	v_madmk_f32 v1, v2, 0x4f800000, v1
	v_rcp_f32_e32 v1, v1
	v_mul_f32_e32 v1, 0x5f7ffffc, v1
	v_mul_f32_e32 v2, 0x2f800000, v1
	v_trunc_f32_e32 v2, v2
	v_madmk_f32 v1, v2, 0xcf800000, v1
	v_cvt_u32_f32_e32 v2, v2
	v_cvt_u32_f32_e32 v1, v1
	v_readfirstlane_b32 s16, v2
	v_readfirstlane_b32 s17, v1
	s_mul_i32 s18, s10, s16
	s_mul_hi_u32 s20, s10, s17
	s_mul_i32 s19, s11, s17
	s_add_i32 s18, s20, s18
	s_add_i32 s18, s18, s19
	s_mul_i32 s21, s10, s17
	s_mul_hi_u32 s19, s17, s18
	s_mul_i32 s20, s17, s18
	s_mul_hi_u32 s17, s17, s21
	s_add_u32 s17, s17, s20
	s_addc_u32 s19, 0, s19
	s_mul_hi_u32 s22, s16, s21
	s_mul_i32 s21, s16, s21
	s_add_u32 s17, s17, s21
	s_mul_hi_u32 s20, s16, s18
	s_addc_u32 s17, s19, s22
	s_addc_u32 s19, s20, 0
	s_mul_i32 s18, s16, s18
	s_add_u32 s17, s17, s18
	s_addc_u32 s18, 0, s19
	v_add_co_u32_e32 v1, vcc, s17, v1
	s_cmp_lg_u64 vcc, 0
	s_addc_u32 s16, s16, s18
	v_readfirstlane_b32 s18, v1
	s_mul_i32 s17, s10, s16
	s_mul_hi_u32 s19, s10, s18
	s_add_i32 s17, s19, s17
	s_mul_i32 s11, s11, s18
	s_add_i32 s17, s17, s11
	s_mul_i32 s10, s10, s18
	s_mul_hi_u32 s19, s16, s10
	s_mul_i32 s20, s16, s10
	s_mul_i32 s22, s18, s17
	s_mul_hi_u32 s10, s18, s10
	s_mul_hi_u32 s21, s18, s17
	s_add_u32 s10, s10, s22
	s_addc_u32 s18, 0, s21
	s_add_u32 s10, s10, s20
	s_mul_hi_u32 s11, s16, s17
	s_addc_u32 s10, s18, s19
	s_addc_u32 s11, s11, 0
	s_mul_i32 s17, s16, s17
	s_add_u32 s10, s10, s17
	s_addc_u32 s11, 0, s11
	v_add_co_u32_e32 v1, vcc, s10, v1
	s_cmp_lg_u64 vcc, 0
	s_addc_u32 s18, s16, s11
	s_ashr_i32 s10, s3, 31
	s_add_u32 s16, s2, s10
	s_mov_b32 s11, s10
	s_addc_u32 s17, s3, s10
	s_xor_b64 s[16:17], s[16:17], s[10:11]
	v_readfirstlane_b32 s20, v1
	s_mul_i32 s19, s16, s18
	s_mul_hi_u32 s21, s16, s20
	s_mul_hi_u32 s3, s16, s18
	s_add_u32 s19, s21, s19
	s_addc_u32 s3, 0, s3
	s_mul_hi_u32 s22, s17, s20
	s_mul_i32 s20, s17, s20
	s_add_u32 s19, s19, s20
	s_mul_hi_u32 s21, s17, s18
	s_addc_u32 s3, s3, s22
	s_addc_u32 s19, s21, 0
	s_mul_i32 s18, s17, s18
	s_add_u32 s3, s3, s18
	s_addc_u32 s18, 0, s19
	s_add_u32 s19, s3, 1
	s_addc_u32 s20, s18, 0
	s_add_u32 s21, s3, 2
	s_mul_i32 s23, s9, s18
	s_mul_hi_u32 s24, s9, s3
	s_addc_u32 s22, s18, 0
	s_add_i32 s24, s24, s23
	s_mul_i32 s23, s9, s3
	v_mov_b32_e32 v1, s23
	v_sub_co_u32_e32 v1, vcc, s16, v1
	s_cmp_lg_u64 vcc, 0
	s_subb_u32 s16, s17, s24
	v_subrev_co_u32_e32 v2, vcc, s9, v1
	s_cmp_lg_u64 vcc, 0
	s_subb_u32 s17, s16, 0
	v_readfirstlane_b32 s23, v2
	s_cmp_ge_u32 s23, s9
	s_cselect_b32 s23, -1, 0
	s_cmp_eq_u32 s17, 0
	s_cselect_b32 s17, s23, -1
	s_cmp_lg_u32 s17, 0
	s_cselect_b32 s17, s22, s20
	v_readfirstlane_b32 s20, v1
	s_cselect_b32 s19, s21, s19
	s_cmp_ge_u32 s20, s9
	s_cselect_b32 s20, -1, 0
	s_cmp_eq_u32 s16, 0
	s_cselect_b32 s16, s20, -1
	s_cmp_lg_u32 s16, 0
	s_cselect_b32 s17, s17, s18
	s_cselect_b32 s16, s19, s3
	s_xor_b64 s[16:17], s[16:17], s[10:11]
	s_sub_u32 s20, s16, s10
	s_load_dwordx4 s[16:19], s[4:5], 0x44
	s_cbranch_execnz .LBB19_3
.LBB19_2:
	v_cvt_f32_u32_e32 v1, s9
	s_sub_i32 s0, 0, s9
	v_rcp_iflag_f32_e32 v1, v1
	v_mul_f32_e32 v1, 0x4f7ffffe, v1
	v_cvt_u32_f32_e32 v1, v1
	v_readfirstlane_b32 s1, v1
	s_mul_i32 s0, s0, s1
	s_mul_hi_u32 s0, s1, s0
	s_add_i32 s1, s1, s0
	s_mul_hi_u32 s0, s2, s1
	s_mul_i32 s3, s0, s9
	s_sub_i32 s2, s2, s3
	s_add_i32 s1, s0, 1
	s_sub_i32 s3, s2, s9
	s_cmp_ge_u32 s2, s9
	s_cselect_b32 s0, s1, s0
	s_cselect_b32 s2, s3, s2
	s_add_i32 s1, s0, 1
	s_cmp_ge_u32 s2, s9
	s_cselect_b32 s20, s1, s0
.LBB19_3:
	s_add_i32 s0, s6, 1
	s_mul_hi_i32 s3, s15, s0
	s_mov_b32 s2, 0
	s_cmp_lg_u64 s[2:3], 0
	s_mul_i32 s2, s15, s0
	s_cbranch_scc0 .LBB19_22
; %bb.4:
	v_cvt_f32_u32_e32 v1, s9
	v_cvt_f32_ubyte0_e32 v2, 0
	s_sub_u32 s10, 0, s9
	s_subb_u32 s11, 0, 0
	v_madmk_f32 v1, v2, 0x4f800000, v1
	v_rcp_f32_e32 v1, v1
	v_mul_f32_e32 v1, 0x5f7ffffc, v1
	v_mul_f32_e32 v2, 0x2f800000, v1
	v_trunc_f32_e32 v2, v2
	v_madmk_f32 v1, v2, 0xcf800000, v1
	v_cvt_u32_f32_e32 v2, v2
	v_cvt_u32_f32_e32 v1, v1
	s_waitcnt lgkmcnt(0)
	v_readfirstlane_b32 s19, v2
	v_readfirstlane_b32 s21, v1
	s_mul_i32 s22, s10, s19
	s_mul_hi_u32 s24, s10, s21
	s_mul_i32 s23, s11, s21
	s_add_i32 s22, s24, s22
	s_add_i32 s22, s22, s23
	s_mul_i32 s25, s10, s21
	s_mul_hi_u32 s23, s21, s22
	s_mul_i32 s24, s21, s22
	s_mul_hi_u32 s21, s21, s25
	s_add_u32 s21, s21, s24
	s_addc_u32 s23, 0, s23
	s_mul_hi_u32 s26, s19, s25
	s_mul_i32 s25, s19, s25
	s_add_u32 s21, s21, s25
	s_mul_hi_u32 s24, s19, s22
	s_addc_u32 s21, s23, s26
	s_addc_u32 s23, s24, 0
	s_mul_i32 s22, s19, s22
	s_add_u32 s21, s21, s22
	s_addc_u32 s22, 0, s23
	v_add_co_u32_e32 v1, vcc, s21, v1
	s_cmp_lg_u64 vcc, 0
	s_addc_u32 s19, s19, s22
	v_readfirstlane_b32 s22, v1
	s_mul_i32 s21, s10, s19
	s_mul_hi_u32 s23, s10, s22
	s_add_i32 s21, s23, s21
	s_mul_i32 s11, s11, s22
	s_add_i32 s21, s21, s11
	s_mul_i32 s10, s10, s22
	s_mul_hi_u32 s23, s19, s10
	s_mul_i32 s24, s19, s10
	s_mul_i32 s26, s22, s21
	s_mul_hi_u32 s10, s22, s10
	s_mul_hi_u32 s25, s22, s21
	s_add_u32 s10, s10, s26
	s_addc_u32 s22, 0, s25
	s_add_u32 s10, s10, s24
	s_mul_hi_u32 s11, s19, s21
	s_addc_u32 s10, s22, s23
	s_addc_u32 s11, s11, 0
	s_mul_i32 s21, s19, s21
	s_add_u32 s10, s10, s21
	s_addc_u32 s11, 0, s11
	v_add_co_u32_e32 v1, vcc, s10, v1
	s_cmp_lg_u64 vcc, 0
	s_addc_u32 s19, s19, s11
	s_ashr_i32 s10, s3, 31
	s_add_u32 s22, s2, s10
	s_mov_b32 s11, s10
	s_addc_u32 s23, s3, s10
	s_xor_b64 s[22:23], s[22:23], s[10:11]
	v_readfirstlane_b32 s21, v1
	s_mul_i32 s11, s22, s19
	s_mul_hi_u32 s24, s22, s21
	s_mul_hi_u32 s3, s22, s19
	s_add_u32 s11, s24, s11
	s_addc_u32 s3, 0, s3
	s_mul_hi_u32 s25, s23, s21
	s_mul_i32 s21, s23, s21
	s_add_u32 s11, s11, s21
	s_mul_hi_u32 s24, s23, s19
	s_addc_u32 s3, s3, s25
	s_addc_u32 s11, s24, 0
	s_mul_i32 s19, s23, s19
	s_add_u32 s3, s3, s19
	s_addc_u32 s11, 0, s11
	s_mul_i32 s11, s9, s11
	s_mul_hi_u32 s24, s9, s3
	s_add_i32 s24, s24, s11
	s_mul_i32 s11, s9, s3
	v_mov_b32_e32 v1, s11
	s_add_u32 s19, s3, 1
	s_add_u32 s21, s3, 2
	v_sub_co_u32_e32 v1, vcc, s22, v1
	s_cmp_lg_u64 vcc, 0
	s_subb_u32 s11, s23, s24
	v_subrev_co_u32_e32 v2, vcc, s9, v1
	s_cmp_lg_u64 vcc, 0
	s_subb_u32 s22, s11, 0
	v_cmp_le_u32_e32 vcc, s9, v2
	s_cmp_eq_u32 s22, 0
	v_cndmask_b32_e64 v2, 0, -1, vcc
	s_cselect_b64 vcc, -1, 0
	v_cndmask_b32_e32 v2, -1, v2, vcc
	v_mov_b32_e32 v3, s19
	v_mov_b32_e32 v4, s21
	v_cmp_ne_u32_e32 vcc, 0, v2
	v_cndmask_b32_e32 v2, v3, v4, vcc
	v_cmp_le_u32_e32 vcc, s9, v1
	s_cmp_eq_u32 s11, 0
	v_cndmask_b32_e64 v1, 0, -1, vcc
	s_cselect_b64 vcc, -1, 0
	v_cndmask_b32_e32 v1, -1, v1, vcc
	v_mov_b32_e32 v3, s3
	v_cmp_ne_u32_e32 vcc, 0, v1
	v_cndmask_b32_e32 v1, v3, v2, vcc
	v_xor_b32_e32 v1, s10, v1
	v_subrev_co_u32_e32 v2, vcc, s10, v1
	s_cbranch_execnz .LBB19_6
.LBB19_5:
	v_cvt_f32_u32_e32 v1, s9
	s_sub_i32 s0, 0, s9
	s_mov_b32 s1, 0
	v_rcp_iflag_f32_e32 v1, v1
	v_mul_f32_e32 v1, 0x4f7ffffe, v1
	v_cvt_u32_f32_e32 v1, v1
	v_readfirstlane_b32 s3, v1
	s_mul_i32 s0, s0, s3
	s_mul_hi_u32 s0, s3, s0
	s_add_i32 s3, s3, s0
	s_mul_hi_u32 s0, s2, s3
	s_mul_i32 s10, s0, s9
	s_sub_i32 s2, s2, s10
	s_add_i32 s3, s0, 1
	s_sub_i32 s10, s2, s9
	s_cmp_ge_u32 s2, s9
	s_cselect_b32 s0, s3, s0
	s_cselect_b32 s2, s10, s2
	s_add_i32 s3, s0, 1
	s_cmp_ge_u32 s2, s9
	s_cselect_b32 s0, s3, s0
	v_pk_mov_b32 v[2:3], s[0:1], s[0:1] op_sel:[0,1]
.LBB19_6:
	s_waitcnt lgkmcnt(0)
	s_mul_hi_u32 s0, s20, s16
	s_add_i32 s0, s0, s20
	v_mul_hi_u32 v1, v2, s16
	s_lshr_b32 s19, s0, s17
	v_add_u32_e32 v1, v1, v2
	s_mul_i32 s0, s19, s18
	v_lshrrev_b32_e32 v1, s17, v1
	s_cmp_eq_u32 s0, s20
	v_cmp_eq_u32_e64 s[0:1], s19, v1
	v_mul_lo_u32 v1, v1, s18
	v_cmp_eq_u32_e32 vcc, s20, v2
	s_cselect_b64 s[10:11], -1, 0
	v_cmp_ne_u32_e64 s[2:3], v1, v2
	s_and_b64 s[0:1], s[0:1], s[2:3]
	s_or_b64 s[2:3], vcc, s[10:11]
	s_or_b64 s[0:1], s[2:3], s[0:1]
	s_and_b64 vcc, exec, s[0:1]
	s_cbranch_vccnz .LBB19_24
; %bb.7:
	s_load_dwordx8 s[24:31], s[4:5], 0x20
	s_load_dword s0, s[4:5], 0x40
	s_mov_b32 s10, 0
	s_waitcnt lgkmcnt(0)
	s_mul_hi_u32 s1, s20, s24
	s_add_i32 s1, s1, s20
	s_lshr_b32 s11, s1, s25
	s_mul_i32 s1, s11, s26
	s_sub_i32 s1, s20, s1
	s_mul_hi_u32 s2, s1, s27
	s_add_i32 s2, s1, s2
	s_lshr_b32 s24, s2, s28
	s_mul_i32 s2, s24, s29
	s_sub_i32 s1, s1, s2
	;; [unrolled: 5-line block ×3, first 2 shown]
	s_mul_hi_u32 s1, s0, s16
	s_add_i32 s0, s0, s1
	s_lshr_b32 s26, s0, s17
	s_lshl_b32 s0, s26, 2
	s_lshl_b32 s25, s2, 2
	s_add_i32 s0, s0, s7
	s_cmp_lt_i32 s0, s12
	s_cselect_b64 s[0:1], -1, 0
	s_add_i32 s2, s25, s8
	s_cmp_lt_i32 s2, s14
	s_cselect_b64 s[2:3], -1, 0
	s_and_b64 s[0:1], s[0:1], s[2:3]
	s_andn2_b64 vcc, exec, s[0:1]
	s_cbranch_vccnz .LBB19_24
; %bb.8:
	s_load_dwordx4 s[0:3], s[4:5], 0x0
	s_lshl_b32 s21, s7, 2
	s_lshl_b32 s4, s9, 6
	s_mov_b32 s5, s10
	s_add_i32 s21, s21, s8
	s_lshl_b64 s[4:5], s[4:5], 2
	s_waitcnt lgkmcnt(0)
	s_add_u32 s22, s2, s4
	s_mul_i32 s4, s11, s12
	s_addc_u32 s23, s3, s5
	s_add_i32 s4, s4, s7
	s_mul_i32 s4, s4, s13
	s_mul_i32 s24, s24, s14
	s_add_i32 s4, s4, s8
	s_add_i32 s4, s4, s24
	s_mul_i32 s5, s13, s26
	s_add_i32 s4, s4, s25
	s_lshl_b32 s5, s5, 11
	s_lshl_b32 s4, s4, 9
	s_add_i32 s5, s5, s4
	v_or_b32_e32 v2, s5, v0
	v_ashrrev_i32_e32 v3, 31, v2
	v_lshlrev_b64 v[2:3], 2, v[2:3]
	v_mov_b32_e32 v1, s1
	v_add_co_u32_e32 v2, vcc, s0, v2
	v_addc_co_u32_e32 v3, vcc, v1, v3, vcc
	global_load_dword v5, v[2:3], off
	v_lshl_or_b32 v4, s21, 9, v0
	v_cvt_f32_u32_e32 v0, s9
	v_cvt_f32_ubyte0_e32 v1, 0
	s_lshl_b32 s0, s6, 4
	s_add_i32 s0, s21, s0
	v_mac_f32_e32 v0, 0x4f800000, v1
	v_rcp_f32_e32 v0, v0
	v_cvt_f32_u32_e32 v1, s9
	s_ashr_i32 s1, s0, 31
	s_lshl_b64 s[0:1], s[0:1], 3
	v_mul_f32_e32 v0, 0x5f7ffffc, v0
	v_rcp_iflag_f32_e32 v1, v1
	s_add_u32 s0, s2, s0
	v_mul_f32_e32 v9, 0x2f800000, v0
	s_addc_u32 s1, s3, s1
	v_trunc_f32_e32 v10, v9
	s_load_dwordx2 s[0:1], s[0:1], 0x0
	v_mac_f32_e32 v0, 0xcf800000, v10
	v_cvt_u32_f32_e32 v9, v0
	v_mul_f32_e32 v0, 0x4f7ffffe, v1
	v_cvt_u32_f32_e32 v10, v10
	v_cvt_u32_f32_e32 v11, v0
	s_add_i32 s8, s6, -1
	s_waitcnt lgkmcnt(0)
	v_mov_b32_e32 v6, s1
	v_mov_b32_e32 v7, s0
	v_mov_b32_e32 v8, s20
	s_mov_b32 s6, 0x3fb8aa3b
	s_mov_b32 s7, 0xc2ce8ed0
	;; [unrolled: 1-line block ×4, first 2 shown]
	v_mov_b32_e32 v12, 0x7f800000
	s_mul_hi_i32 s11, s8, s15
	s_cmp_lg_u64 s[10:11], 0
	s_mul_i32 s4, s8, s15
	s_cbranch_scc0 .LBB19_15
.LBB19_9:
	s_sub_u32 s0, 0, s9
	v_readfirstlane_b32 s5, v9
	v_readfirstlane_b32 s24, v10
	s_subb_u32 s1, 0, 0
	s_mul_hi_u32 s20, s0, s5
	s_mul_i32 s25, s0, s24
	s_mul_i32 s14, s1, s5
	s_add_i32 s20, s20, s25
	s_add_i32 s20, s20, s14
	s_mul_i32 s26, s0, s5
	s_mul_hi_u32 s14, s5, s20
	s_mul_i32 s25, s5, s20
	s_mul_hi_u32 s5, s5, s26
	s_add_u32 s5, s5, s25
	s_addc_u32 s14, 0, s14
	s_mul_hi_u32 s27, s24, s26
	s_mul_i32 s26, s24, s26
	s_add_u32 s5, s5, s26
	s_mul_hi_u32 s25, s24, s20
	s_addc_u32 s5, s14, s27
	s_addc_u32 s14, s25, 0
	s_mul_i32 s20, s24, s20
	s_add_u32 s5, s5, s20
	s_addc_u32 s14, 0, s14
	v_add_co_u32_e32 v0, vcc, s5, v9
	s_cmp_lg_u64 vcc, 0
	s_addc_u32 s5, s24, s14
	v_readfirstlane_b32 s20, v0
	s_mul_i32 s14, s0, s5
	s_mul_hi_u32 s24, s0, s20
	s_add_i32 s14, s24, s14
	s_mul_i32 s1, s1, s20
	s_add_i32 s14, s14, s1
	s_mul_i32 s0, s0, s20
	s_mul_hi_u32 s24, s5, s0
	s_mul_i32 s25, s5, s0
	s_mul_i32 s27, s20, s14
	s_mul_hi_u32 s0, s20, s0
	s_mul_hi_u32 s26, s20, s14
	s_add_u32 s0, s0, s27
	s_addc_u32 s20, 0, s26
	s_add_u32 s0, s0, s25
	s_mul_hi_u32 s1, s5, s14
	s_addc_u32 s0, s20, s24
	s_addc_u32 s1, s1, 0
	s_mul_i32 s14, s5, s14
	s_add_u32 s0, s0, s14
	s_addc_u32 s1, 0, s1
	v_add_co_u32_e32 v0, vcc, s0, v0
	s_cmp_lg_u64 vcc, 0
	s_addc_u32 s5, s5, s1
	s_ashr_i32 s0, s11, 31
	s_add_u32 s24, s4, s0
	s_mov_b32 s1, s0
	s_addc_u32 s25, s11, s0
	s_xor_b64 s[24:25], s[24:25], s[0:1]
	v_readfirstlane_b32 s14, v0
	s_mul_i32 s11, s24, s5
	s_mul_hi_u32 s20, s24, s14
	s_mul_hi_u32 s1, s24, s5
	s_add_u32 s11, s20, s11
	s_addc_u32 s1, 0, s1
	s_mul_hi_u32 s26, s25, s14
	s_mul_i32 s14, s25, s14
	s_add_u32 s11, s11, s14
	s_mul_hi_u32 s20, s25, s5
	s_addc_u32 s1, s1, s26
	s_addc_u32 s11, s20, 0
	s_mul_i32 s5, s25, s5
	s_add_u32 s1, s1, s5
	s_addc_u32 s5, 0, s11
	s_mul_i32 s5, s9, s5
	s_mul_hi_u32 s20, s9, s1
	s_add_i32 s20, s20, s5
	s_mul_i32 s5, s9, s1
	v_mov_b32_e32 v0, s5
	s_add_u32 s11, s1, 1
	s_add_u32 s14, s1, 2
	v_sub_co_u32_e32 v0, vcc, s24, v0
	s_cmp_lg_u64 vcc, 0
	s_subb_u32 s5, s25, s20
	v_subrev_co_u32_e32 v1, vcc, s9, v0
	s_cmp_lg_u64 vcc, 0
	s_subb_u32 s20, s5, 0
	v_cmp_le_u32_e32 vcc, s9, v1
	s_cmp_eq_u32 s20, 0
	v_cndmask_b32_e64 v1, 0, -1, vcc
	s_cselect_b64 vcc, -1, 0
	v_cndmask_b32_e32 v1, -1, v1, vcc
	v_mov_b32_e32 v13, s11
	v_mov_b32_e32 v14, s14
	v_cmp_ne_u32_e32 vcc, 0, v1
	v_cndmask_b32_e32 v1, v13, v14, vcc
	v_cmp_le_u32_e32 vcc, s9, v0
	s_cmp_eq_u32 s5, 0
	v_cndmask_b32_e64 v0, 0, -1, vcc
	s_cselect_b64 vcc, -1, 0
	v_cndmask_b32_e32 v0, -1, v0, vcc
	v_mov_b32_e32 v13, s1
	v_cmp_ne_u32_e32 vcc, 0, v0
	v_cndmask_b32_e32 v0, v13, v1, vcc
	v_xor_b32_e32 v0, s0, v0
	v_subrev_co_u32_e32 v0, vcc, s0, v0
	s_cbranch_execnz .LBB19_11
.LBB19_10:
	s_sub_i32 s0, 0, s9
	v_mul_lo_u32 v0, s0, v11
	v_mul_hi_u32 v0, v11, v0
	v_add_u32_e32 v0, v11, v0
	v_mul_hi_u32 v0, s4, v0
	v_mul_lo_u32 v13, v0, s9
	v_sub_u32_e32 v13, s4, v13
	v_add_u32_e32 v1, 1, v0
	v_subrev_u32_e32 v14, s9, v13
	v_cmp_le_u32_e32 vcc, s9, v13
	v_cndmask_b32_e32 v13, v13, v14, vcc
	v_cndmask_b32_e32 v0, v0, v1, vcc
	v_add_u32_e32 v1, 1, v0
	v_cmp_le_u32_e32 vcc, s9, v13
	v_cndmask_b32_e32 v0, v0, v1, vcc
.LBB19_11:
	v_cmp_ne_u32_e32 vcc, v8, v0
	s_cbranch_vccz .LBB19_14
; %bb.12:
	s_add_i32 s0, s8, s9
	s_lshl_b32 s0, s0, 4
	v_mul_hi_u32 v1, v0, s16
	s_add_i32 s0, s0, s21
	s_mov_b32 s1, s10
	v_add_u32_e32 v1, v1, v0
	s_lshl_b64 s[0:1], s[0:1], 3
	v_lshrrev_b32_e32 v1, s17, v1
	s_add_u32 s4, s2, s0
	v_mul_lo_u32 v13, v1, s18
	s_addc_u32 s5, s3, s1
	v_cmp_eq_u32_e32 vcc, v13, v0
	v_cmp_gt_u32_e64 s[0:1], s19, v1
	s_or_b64 s[0:1], s[0:1], vcc
	s_and_b64 vcc, exec, s[0:1]
	s_cbranch_vccnz .LBB19_16
; %bb.13:
	s_add_i32 s11, s8, -1
	s_mov_b64 s[0:1], 0
	s_branch .LBB19_17
.LBB19_14:
                                        ; implicit-def: $sgpr0_sgpr1
                                        ; implicit-def: $vgpr14
                                        ; implicit-def: $vgpr1
                                        ; implicit-def: $vgpr13
                                        ; implicit-def: $sgpr11
                                        ; implicit-def: $vgpr0
	s_branch .LBB19_18
.LBB19_15:
                                        ; implicit-def: $vgpr0_vgpr1
	s_branch .LBB19_10
.LBB19_16:
	s_mov_b64 s[0:1], -1
	s_mov_b32 s11, s8
	v_mov_b32_e32 v0, v8
.LBB19_17:
	v_lshl_add_u32 v14, s8, 13, v4
	v_ashrrev_i32_e32 v15, 31, v14
	v_lshlrev_b64 v[14:15], 2, v[14:15]
	v_mov_b32_e32 v1, s23
	v_add_co_u32_e32 v14, vcc, s22, v14
	v_addc_co_u32_e32 v15, vcc, v1, v15, vcc
	global_load_dword v14, v[14:15], off
	s_load_dwordx2 s[4:5], s[4:5], 0x0
	v_max_f32_e32 v1, v7, v7
	s_waitcnt lgkmcnt(0)
	v_max_f32_e64 v13, s4, s4
	v_max_f32_e32 v1, v1, v13
	v_sub_f32_e32 v13, v7, v1
	v_sub_f32_e32 v15, s4, v1
	v_mul_f32_e32 v16, 0x3fb8aa3b, v13
	v_mul_f32_e32 v17, 0x3fb8aa3b, v15
	v_fma_f32 v18, v13, s6, -v16
	v_rndne_f32_e32 v19, v16
	v_fma_f32 v20, v15, s6, -v17
	v_rndne_f32_e32 v21, v17
	v_fmac_f32_e32 v18, 0x32a5705f, v13
	v_sub_f32_e32 v16, v16, v19
	v_fmac_f32_e32 v20, 0x32a5705f, v15
	v_sub_f32_e32 v17, v17, v21
	v_add_f32_e32 v16, v16, v18
	v_cvt_i32_f32_e32 v19, v19
	v_add_f32_e32 v17, v17, v20
	v_exp_f32_e32 v16, v16
	v_cvt_i32_f32_e32 v21, v21
	v_exp_f32_e32 v17, v17
	v_cmp_ngt_f32_e32 vcc, s7, v13
	v_ldexp_f32 v16, v16, v19
	v_cndmask_b32_e32 v16, 0, v16, vcc
	v_ldexp_f32 v17, v17, v21
	v_cmp_ngt_f32_e32 vcc, s7, v15
	v_cndmask_b32_e32 v17, 0, v17, vcc
	v_cmp_nlt_f32_e32 vcc, s12, v13
	v_cndmask_b32_e32 v16, v12, v16, vcc
	v_cmp_nlt_f32_e32 vcc, s12, v15
	v_cndmask_b32_e32 v17, v12, v17, vcc
	v_cmp_le_f32_e32 vcc, s13, v13
	v_cndmask_b32_e32 v16, 0, v16, vcc
	v_cmp_le_f32_e32 vcc, s13, v15
	v_cndmask_b32_e32 v15, 0, v17, vcc
	v_mul_f32_e32 v13, s5, v15
	v_fmac_f32_e32 v13, v6, v16
	s_waitcnt vmcnt(0)
	v_mul_f32_e32 v14, v14, v15
	v_fmac_f32_e32 v14, v5, v16
	s_cbranch_execnz .LBB19_19
.LBB19_18:
	s_add_i32 s11, s8, -1
	s_mov_b64 s[0:1], 0
	v_mov_b32_e32 v0, v8
	v_mov_b32_e32 v13, v6
	;; [unrolled: 1-line block ×3, first 2 shown]
	s_waitcnt vmcnt(0)
	v_mov_b32_e32 v14, v5
.LBB19_19:
	s_andn2_b64 vcc, exec, s[0:1]
	s_cbranch_vccz .LBB19_23
; %bb.20:
	v_mov_b32_e32 v8, v0
	s_mov_b32 s8, s11
	v_mov_b32_e32 v6, v13
	v_mov_b32_e32 v7, v1
	s_waitcnt vmcnt(0)
	v_mov_b32_e32 v5, v14
	s_mul_hi_i32 s11, s8, s15
	s_cmp_lg_u64 s[10:11], 0
	s_mul_i32 s4, s8, s15
	s_cbranch_scc1 .LBB19_9
	s_branch .LBB19_15
.LBB19_21:
                                        ; implicit-def: $sgpr20_sgpr21
	s_load_dwordx4 s[16:19], s[4:5], 0x44
	s_branch .LBB19_2
.LBB19_22:
                                        ; implicit-def: $vgpr2_vgpr3
	s_branch .LBB19_5
.LBB19_23:
	v_div_scale_f32 v0, s[0:1], v13, v13, v14
	v_rcp_f32_e32 v1, v0
	v_div_scale_f32 v4, vcc, v14, v13, v14
	s_waitcnt vmcnt(0)
	v_fma_f32 v5, -v0, v1, 1.0
	v_fmac_f32_e32 v1, v5, v1
	v_mul_f32_e32 v5, v4, v1
	v_fma_f32 v6, -v0, v5, v4
	v_fmac_f32_e32 v5, v6, v1
	v_fma_f32 v0, -v0, v5, v4
	v_div_fmas_f32 v0, v0, v1, v5
	v_div_fixup_f32 v0, v0, v13, v14
	global_store_dword v[2:3], v0, off
.LBB19_24:
	s_endpgm
	.section	.rodata,"a",@progbits
	.p2align	6, 0x0
	.amdhsa_kernel _ZL33flash_attn_stream_k_fixup_generalILi512ELi4ELi4EEvPfPK15HIP_vector_typeIfLj2EEiiiiS1_IjLj3EES5_S5_S5_
		.amdhsa_group_segment_fixed_size 0
		.amdhsa_private_segment_fixed_size 0
		.amdhsa_kernarg_size 336
		.amdhsa_user_sgpr_count 6
		.amdhsa_user_sgpr_private_segment_buffer 1
		.amdhsa_user_sgpr_dispatch_ptr 0
		.amdhsa_user_sgpr_queue_ptr 0
		.amdhsa_user_sgpr_kernarg_segment_ptr 1
		.amdhsa_user_sgpr_dispatch_id 0
		.amdhsa_user_sgpr_flat_scratch_init 0
		.amdhsa_user_sgpr_kernarg_preload_length 0
		.amdhsa_user_sgpr_kernarg_preload_offset 0
		.amdhsa_user_sgpr_private_segment_size 0
		.amdhsa_uses_dynamic_stack 0
		.amdhsa_system_sgpr_private_segment_wavefront_offset 0
		.amdhsa_system_sgpr_workgroup_id_x 1
		.amdhsa_system_sgpr_workgroup_id_y 1
		.amdhsa_system_sgpr_workgroup_id_z 1
		.amdhsa_system_sgpr_workgroup_info 0
		.amdhsa_system_vgpr_workitem_id 0
		.amdhsa_next_free_vgpr 22
		.amdhsa_next_free_sgpr 32
		.amdhsa_accum_offset 24
		.amdhsa_reserve_vcc 1
		.amdhsa_reserve_flat_scratch 0
		.amdhsa_float_round_mode_32 0
		.amdhsa_float_round_mode_16_64 0
		.amdhsa_float_denorm_mode_32 3
		.amdhsa_float_denorm_mode_16_64 3
		.amdhsa_dx10_clamp 1
		.amdhsa_ieee_mode 1
		.amdhsa_fp16_overflow 0
		.amdhsa_tg_split 0
		.amdhsa_exception_fp_ieee_invalid_op 0
		.amdhsa_exception_fp_denorm_src 0
		.amdhsa_exception_fp_ieee_div_zero 0
		.amdhsa_exception_fp_ieee_overflow 0
		.amdhsa_exception_fp_ieee_underflow 0
		.amdhsa_exception_fp_ieee_inexact 0
		.amdhsa_exception_int_div_zero 0
	.end_amdhsa_kernel
	.section	.text._ZL33flash_attn_stream_k_fixup_generalILi512ELi4ELi4EEvPfPK15HIP_vector_typeIfLj2EEiiiiS1_IjLj3EES5_S5_S5_,"axG",@progbits,_ZL33flash_attn_stream_k_fixup_generalILi512ELi4ELi4EEvPfPK15HIP_vector_typeIfLj2EEiiiiS1_IjLj3EES5_S5_S5_,comdat
.Lfunc_end19:
	.size	_ZL33flash_attn_stream_k_fixup_generalILi512ELi4ELi4EEvPfPK15HIP_vector_typeIfLj2EEiiiiS1_IjLj3EES5_S5_S5_, .Lfunc_end19-_ZL33flash_attn_stream_k_fixup_generalILi512ELi4ELi4EEvPfPK15HIP_vector_typeIfLj2EEiiiiS1_IjLj3EES5_S5_S5_
                                        ; -- End function
	.section	.AMDGPU.csdata,"",@progbits
; Kernel info:
; codeLenInByte = 2824
; NumSgprs: 36
; NumVgprs: 22
; NumAgprs: 0
; TotalNumVgprs: 22
; ScratchSize: 0
; MemoryBound: 0
; FloatMode: 240
; IeeeMode: 1
; LDSByteSize: 0 bytes/workgroup (compile time only)
; SGPRBlocks: 4
; VGPRBlocks: 2
; NumSGPRsForWavesPerEU: 36
; NumVGPRsForWavesPerEU: 22
; AccumOffset: 24
; Occupancy: 8
; WaveLimiterHint : 0
; COMPUTE_PGM_RSRC2:SCRATCH_EN: 0
; COMPUTE_PGM_RSRC2:USER_SGPR: 6
; COMPUTE_PGM_RSRC2:TRAP_HANDLER: 0
; COMPUTE_PGM_RSRC2:TGID_X_EN: 1
; COMPUTE_PGM_RSRC2:TGID_Y_EN: 1
; COMPUTE_PGM_RSRC2:TGID_Z_EN: 1
; COMPUTE_PGM_RSRC2:TIDIG_COMP_CNT: 0
; COMPUTE_PGM_RSRC3_GFX90A:ACCUM_OFFSET: 5
; COMPUTE_PGM_RSRC3_GFX90A:TG_SPLIT: 0
	.section	.text._ZL15flash_attn_tileILi512ELi512ELi2ELi4ELb0EEvPKcS1_S1_S1_S1_PKiPfP15HIP_vector_typeIfLj2EEffffjfiS5_IjLj3EEiiiiiiiiiiiliiliiiiil,"axG",@progbits,_ZL15flash_attn_tileILi512ELi512ELi2ELi4ELb0EEvPKcS1_S1_S1_S1_PKiPfP15HIP_vector_typeIfLj2EEffffjfiS5_IjLj3EEiiiiiiiiiiiliiliiiiil,comdat
	.globl	_ZL15flash_attn_tileILi512ELi512ELi2ELi4ELb0EEvPKcS1_S1_S1_S1_PKiPfP15HIP_vector_typeIfLj2EEffffjfiS5_IjLj3EEiiiiiiiiiiiliiliiiiil ; -- Begin function _ZL15flash_attn_tileILi512ELi512ELi2ELi4ELb0EEvPKcS1_S1_S1_S1_PKiPfP15HIP_vector_typeIfLj2EEffffjfiS5_IjLj3EEiiiiiiiiiiiliiliiiiil
	.p2align	8
	.type	_ZL15flash_attn_tileILi512ELi512ELi2ELi4ELb0EEvPKcS1_S1_S1_S1_PKiPfP15HIP_vector_typeIfLj2EEffffjfiS5_IjLj3EEiiiiiiiiiiiliiliiiiil,@function
_ZL15flash_attn_tileILi512ELi512ELi2ELi4ELb0EEvPKcS1_S1_S1_S1_PKiPfP15HIP_vector_typeIfLj2EEffffjfiS5_IjLj3EEiiiiiiiiiiiliiliiiiil: ; @_ZL15flash_attn_tileILi512ELi512ELi2ELi4ELb0EEvPKcS1_S1_S1_S1_PKiPfP15HIP_vector_typeIfLj2EEffffjfiS5_IjLj3EEiiiiiiiiiiiliiliiiiil
; %bb.0:
	s_load_dwordx4 s[24:27], s[4:5], 0x5c
	s_load_dwordx2 s[28:29], s[4:5], 0x80
	s_mov_b64 s[30:31], 0
	s_waitcnt lgkmcnt(0)
	s_ashr_i32 s0, s27, 31
	s_lshr_b32 s0, s0, 30
	s_add_i32 s0, s27, s0
	s_ashr_i32 s0, s0, 2
	v_cvt_f32_u32_e32 v1, s0
	s_sub_i32 s1, 0, s0
	v_rcp_iflag_f32_e32 v1, v1
	v_mul_f32_e32 v1, 0x4f7ffffe, v1
	v_cvt_u32_f32_e32 v1, v1
	v_readfirstlane_b32 s2, v1
	s_mul_i32 s1, s1, s2
	s_mul_hi_u32 s1, s2, s1
	s_add_i32 s2, s2, s1
	s_mul_hi_u32 s1, s8, s2
	s_mul_i32 s2, s1, s0
	s_sub_i32 s2, s8, s2
	s_add_i32 s3, s1, 1
	s_sub_i32 s9, s2, s0
	s_cmp_ge_u32 s2, s0
	s_cselect_b32 s1, s3, s1
	s_cselect_b32 s2, s9, s2
	s_add_i32 s3, s1, 1
	s_cmp_ge_u32 s2, s0
	s_cselect_b32 s33, s3, s1
	s_abs_i32 s0, s29
	v_cvt_f32_u32_e32 v1, s0
	s_lshl_b32 s1, s8, 2
	s_mul_i32 s8, s33, s27
	s_xor_b32 s2, s27, s29
	v_rcp_iflag_f32_e32 v1, v1
	s_sub_i32 s9, 0, s0
	s_sub_i32 s29, s1, s8
	s_abs_i32 s3, s27
	v_mul_f32_e32 v1, 0x4f7ffffe, v1
	v_cvt_u32_f32_e32 v1, v1
	s_ashr_i32 s2, s2, 31
	v_readfirstlane_b32 s1, v1
	s_mul_i32 s9, s9, s1
	s_mul_hi_u32 s8, s1, s9
	s_add_i32 s1, s1, s8
	s_mul_hi_u32 s1, s3, s1
	s_mul_i32 s8, s1, s0
	s_sub_i32 s3, s3, s8
	s_add_i32 s9, s1, 1
	s_sub_i32 s8, s3, s0
	s_cmp_ge_u32 s3, s0
	s_cselect_b32 s1, s9, s1
	s_cselect_b32 s3, s8, s3
	s_add_i32 s8, s1, 1
	s_cmp_ge_u32 s3, s0
	s_cselect_b32 s0, s8, s1
	s_xor_b32 s0, s0, s2
	s_sub_i32 s35, s0, s2
	s_abs_i32 s34, s35
	v_cvt_f32_u32_e32 v1, s34
	s_load_dwordx16 s[8:23], s[4:5], 0x0
	s_load_dwordx2 s[0:1], s[4:5], 0xb8
	v_rcp_iflag_f32_e32 v1, v1
	s_waitcnt lgkmcnt(0)
	s_cmp_eq_u64 s[14:15], 0
	v_mul_f32_e32 v1, 0x4f7ffffe, v1
	v_cvt_u32_f32_e32 v1, v1
	v_readfirstlane_b32 s36, v1
	s_cbranch_scc1 .LBB20_2
; %bb.1:
	s_abs_i32 s0, s0
	v_cvt_f32_u32_e32 v1, s0
	s_sub_i32 s37, 0, s0
	s_abs_i32 s31, s33
	s_ashr_i32 s30, s33, 31
	v_rcp_iflag_f32_e32 v1, v1
	s_load_dwordx2 s[2:3], s[4:5], 0xc8
	v_mul_f32_e32 v1, 0x4f7ffffe, v1
	v_cvt_u32_f32_e32 v1, v1
	v_readfirstlane_b32 s38, v1
	s_mul_i32 s37, s37, s38
	s_mul_hi_u32 s37, s38, s37
	s_add_i32 s38, s38, s37
	s_mul_hi_u32 s37, s31, s38
	s_mul_i32 s37, s37, s0
	s_sub_i32 s31, s31, s37
	s_sub_i32 s37, s31, s0
	s_cmp_ge_u32 s31, s0
	s_cselect_b32 s31, s37, s31
	s_sub_i32 s37, s31, s0
	s_cmp_ge_u32 s31, s0
	s_cselect_b32 s0, s37, s31
	s_xor_b32 s0, s0, s30
	s_sub_i32 s0, s0, s30
	s_ashr_i32 s30, s0, 31
	s_waitcnt lgkmcnt(0)
	s_mul_i32 s3, s0, s3
	s_mul_hi_u32 s31, s0, s2
	s_add_i32 s3, s31, s3
	s_mul_i32 s30, s30, s2
	s_add_i32 s3, s3, s30
	s_mul_i32 s0, s0, s2
	s_add_u32 s30, s14, s0
	s_addc_u32 s31, s15, s3
.LBB20_2:
	s_load_dwordx4 s[40:43], s[4:5], 0x70
	v_bfe_u32 v4, v0, 10, 10
	v_and_b32_e32 v1, 3, v4
	v_lshrrev_b32_e32 v5, 2, v4
	v_lshl_add_u32 v32, s6, 1, v5
	s_waitcnt lgkmcnt(0)
	s_mul_i32 s0, s33, s42
	s_ashr_i32 s3, s0, 31
	s_mul_i32 s2, s29, s41
	s_add_u32 s0, s8, s0
	s_addc_u32 s3, s9, s3
	s_ashr_i32 s8, s2, 31
	s_add_u32 s0, s0, s2
	s_addc_u32 s8, s3, s8
	s_ashr_i32 s9, s41, 31
	v_mov_b32_e32 v2, s41
	v_alignbit_b32 v2, s9, v2, 2
	v_mad_u64_u32 v[6:7], s[2:3], v2, v1, 0
	v_mov_b32_e32 v2, v7
	s_lshr_b32 s2, s9, 2
	v_mad_u64_u32 v[2:3], s[2:3], s2, v1, v[2:3]
	v_mov_b32_e32 v7, v2
	v_mul_hi_u32 v2, s24, v32
	v_add_u32_e32 v2, v32, v2
	v_lshrrev_b32_e32 v2, s25, v2
	v_mul_lo_u32 v2, v2, s26
	s_ashr_i32 s9, s40, 31
	v_mov_b32_e32 v3, s40
	v_sub_u32_e32 v2, v32, v2
	v_alignbit_b32 v3, s9, v3, 2
	v_mad_u64_u32 v[8:9], s[2:3], v3, v2, 0
	v_mov_b32_e32 v10, v9
	s_lshr_b32 s2, s9, 2
	v_mad_u64_u32 v[10:11], s[2:3], s2, v2, v[10:11]
	v_lshlrev_b64 v[6:7], 2, v[6:7]
	v_mov_b32_e32 v9, v10
	v_mov_b32_e32 v3, s8
	v_add_co_u32_e32 v5, vcc, s0, v6
	v_addc_co_u32_e32 v3, vcc, v3, v7, vcc
	v_lshlrev_b64 v[6:7], 2, v[8:9]
	v_and_b32_e32 v0, 0x3ff, v0
	v_add_co_u32_e32 v5, vcc, v5, v6
	v_addc_co_u32_e32 v3, vcc, v3, v7, vcc
	v_lshlrev_b32_e32 v6, 4, v0
	v_add_co_u32_e32 v22, vcc, v5, v6
	v_addc_co_u32_e32 v23, vcc, 0, v3, vcc
	global_load_dwordx4 v[6:9], v[22:23], off
	global_load_dwordx4 v[10:13], v[22:23], off offset:512
	global_load_dwordx4 v[14:17], v[22:23], off offset:1024
	;; [unrolled: 1-line block ×3, first 2 shown]
	s_load_dword s0, s[4:5], 0x40
	v_lshlrev_b32_e32 v3, 8, v4
	v_lshlrev_b32_e32 v5, 1, v0
	v_add_lshl_u32 v3, v5, v3, 2
	s_mov_b32 s3, 0
	v_add_u32_e32 v3, 0x2000, v3
	s_cmp_eq_u64 s[18:19], 0
	s_waitcnt vmcnt(3) lgkmcnt(0)
	v_pk_mul_f32 v[6:7], v[6:7], s[0:1] op_sel_hi:[1,0]
	v_pk_mul_f32 v[8:9], v[8:9], s[0:1] op_sel_hi:[1,0]
	s_waitcnt vmcnt(2)
	v_pk_mul_f32 v[10:11], v[10:11], s[0:1] op_sel_hi:[1,0]
	v_pk_mul_f32 v[12:13], v[12:13], s[0:1] op_sel_hi:[1,0]
	s_waitcnt vmcnt(1)
	;; [unrolled: 3-line block ×3, first 2 shown]
	v_pk_mul_f32 v[18:19], v[18:19], s[0:1] op_sel_hi:[1,0]
	v_pk_mul_f32 v[20:21], v[20:21], s[0:1] op_sel_hi:[1,0]
	v_cvt_f16_f32_e32 v5, v7
	v_cvt_f16_f32_e32 v6, v6
	;; [unrolled: 1-line block ×16, first 2 shown]
	v_pack_b32_f16 v7, v8, v7
	v_pack_b32_f16 v6, v6, v5
	;; [unrolled: 1-line block ×8, first 2 shown]
	ds_write2_b64 v3, v[6:7], v[8:9] offset0:128 offset1:160
	ds_write2_b64 v3, v[10:11], v[12:13] offset0:192 offset1:224
	s_waitcnt lgkmcnt(0)
	s_barrier
	s_cbranch_scc1 .LBB20_4
; %bb.3:
	s_load_dword s0, s[4:5], 0xd0
	s_waitcnt lgkmcnt(0)
	s_mul_i32 s0, s0, s33
	s_add_i32 s2, s0, s6
	s_lshl_b64 s[2:3], s[2:3], 2
	s_add_u32 s2, s18, s2
	s_addc_u32 s3, s19, s3
	s_load_dword s28, s[2:3], 0x0
.LBB20_4:
	s_lshl_b32 s6, s7, 6
	v_lshlrev_b32_e32 v33, 2, v0
	s_waitcnt lgkmcnt(0)
	s_cmp_lt_i32 s6, s28
	v_mbcnt_lo_u32_b32 v9, -1, 0
	s_cbranch_scc1 .LBB20_6
; %bb.5:
	v_mbcnt_hi_u32_b32 v3, -1, v9
	v_and_b32_e32 v5, 0x60, v3
	s_mov_b32 s0, 0
	v_add_u32_e32 v34, 32, v5
	v_xor_b32_e32 v39, 16, v3
	v_xor_b32_e32 v38, 8, v3
	;; [unrolled: 1-line block ×5, first 2 shown]
	s_mov_b64 s[2:3], 0
	s_mov_b32 s8, 0xfeffffff
	s_branch .LBB20_7
.LBB20_6:
	s_mov_b64 s[2:3], -1
                                        ; implicit-def: $sgpr8
                                        ; implicit-def: $sgpr0
                                        ; implicit-def: $vgpr3
                                        ; implicit-def: $vgpr34
                                        ; implicit-def: $vgpr39
                                        ; implicit-def: $vgpr38
                                        ; implicit-def: $vgpr37
                                        ; implicit-def: $vgpr36
                                        ; implicit-def: $vgpr35
.LBB20_7:
	s_andn2_b64 vcc, exec, s[2:3]
	v_mov_b32_e32 v8, s8
	v_mov_b32_e32 v10, s0
	;; [unrolled: 1-line block ×10, first 2 shown]
	s_cbranch_vccnz .LBB20_10
; %bb.8:
	s_sub_i32 s0, 0, s34
	s_mul_i32 s0, s0, s36
	s_mul_hi_u32 s0, s36, s0
	s_add_i32 s0, s36, s0
	s_load_dwordx2 s[2:3], s[4:5], 0x8c
	s_load_dwordx4 s[36:39], s[4:5], 0x98
	s_ashr_i32 s18, s35, 31
	s_abs_i32 s14, s29
	s_ashr_i32 s15, s29, 31
	s_waitcnt lgkmcnt(0)
	s_ashr_i32 s25, s2, 2
	s_ashr_i32 s2, s33, 31
	s_mul_i32 s19, s33, s37
	s_mul_hi_u32 s35, s33, s36
	s_add_i32 s19, s35, s19
	s_mul_i32 s35, s2, s36
	s_ashr_i32 s24, s38, 2
	s_ashr_i32 s1, s1, 1
	s_add_i32 s19, s19, s35
	s_mul_i32 s35, s33, s36
	s_mul_hi_u32 s0, s14, s0
	s_add_u32 s10, s10, s35
	s_addc_u32 s11, s11, s19
	s_xor_b32 s15, s15, s18
	s_mul_i32 s18, s0, s34
	s_sub_i32 s14, s14, s18
	s_add_i32 s18, s0, 1
	s_sub_i32 s19, s14, s34
	s_cmp_ge_u32 s14, s34
	s_cselect_b32 s0, s18, s0
	s_cselect_b32 s14, s19, s14
	s_add_i32 s18, s0, 1
	s_cmp_ge_u32 s14, s34
	s_load_dwordx2 s[8:9], s[4:5], 0xa8
	s_cselect_b32 s0, s18, s0
	s_xor_b32 s0, s0, s15
	s_sub_i32 s0, s0, s15
	s_mul_i32 s3, s0, s3
	s_ashr_i32 s14, s3, 31
	s_add_u32 s34, s10, s3
	s_waitcnt lgkmcnt(0)
	s_mul_i32 s3, s33, s9
	s_mul_hi_u32 s9, s33, s8
	s_addc_u32 s35, s11, s14
	s_add_i32 s3, s9, s3
	s_mul_i32 s2, s2, s8
	s_add_i32 s3, s3, s2
	s_mul_i32 s2, s33, s8
	s_add_u32 s2, s12, s2
	s_mul_i32 s0, s0, s39
	s_addc_u32 s3, s13, s3
	s_ashr_i32 s8, s0, 31
	v_lshrrev_b32_e32 v3, 3, v0
	v_and_b32_e32 v6, 28, v33
	s_add_u32 s2, s2, s0
	v_lshl_add_u32 v3, v4, 2, v3
	v_lshlrev_b32_e32 v5, 2, v6
	s_movk_i32 s0, 0x90
	v_mad_u32_u24 v40, v3, s0, v5
	v_mul_lo_u32 v10, s25, v3
	v_mad_u64_u32 v[2:3], s[0:1], v2, s1, v[0:1]
	v_mov_b32_e32 v3, 0x4400
	v_lshlrev_b32_e32 v5, 10, v4
	v_lshl_add_u32 v44, v4, 7, v3
	v_lshlrev_b32_e32 v3, 2, v33
	v_mul_lo_u32 v4, s24, v4
	v_add_u32_e32 v42, 0x2400, v5
	v_add_u32_e32 v46, v5, v3
	v_ashrrev_i32_e32 v5, 31, v4
	s_addc_u32 s3, s3, s8
	v_lshlrev_b64 v[4:5], 2, v[4:5]
	v_mov_b32_e32 v7, s3
	v_add_co_u32_e32 v4, vcc, s2, v4
	v_addc_co_u32_e32 v5, vcc, v7, v5, vcc
	v_lshl_add_u32 v12, s25, 5, v10
	v_add_co_u32_e32 v49, vcc, v4, v3
	v_mbcnt_hi_u32_b32 v3, -1, v9
	v_ashrrev_i32_e32 v11, 31, v10
	v_ashrrev_i32_e32 v13, 31, v12
	v_lshlrev_b32_e32 v48, 3, v0
	s_add_u32 s18, s4, 0xd0
	v_and_b32_e32 v9, 0x60, v3
	v_mov_b32_e32 v57, 0
	v_add_u32_e32 v41, 0x1200, v40
	v_mul_u32_u24_e32 v43, 0x90, v0
	v_lshl_add_u32 v45, v0, 1, v44
	v_add_u32_e32 v47, 0x200, v46
	s_addc_u32 s19, s5, 0
	v_addc_co_u32_e32 v50, vcc, 0, v5, vcc
	v_mov_b32_e32 v8, 0xfeffffff
	v_lshlrev_b64 v[4:5], 2, v[10:11]
	v_lshlrev_b32_e32 v51, 2, v6
	v_lshlrev_b64 v[6:7], 2, v[12:13]
	v_mov_b32_e32 v52, s31
	v_add_u32_e32 v34, 32, v9
	v_xor_b32_e32 v39, 16, v3
	v_xor_b32_e32 v38, 8, v3
	v_xor_b32_e32 v37, 4, v3
	v_xor_b32_e32 v36, 2, v3
	v_xor_b32_e32 v35, 1, v3
	s_mov_b32 s31, 0x3fb8aa3b
	s_mov_b32 s36, 0xc2ce8ed0
	s_mov_b32 s37, 0x42b17218
	v_mov_b32_e32 v53, 0x7f800000
	v_add_u32_e32 v54, 0x800, v48
	v_add_u32_e32 v55, 0x1000, v48
	;; [unrolled: 1-line block ×3, first 2 shown]
	v_mov_b32_e32 v58, 0
	v_mov_b32_e32 v59, 0
	;; [unrolled: 1-line block ×8, first 2 shown]
.LBB20_9:                               ; =>This Inner Loop Header: Depth=1
	v_cmp_lt_i32_e32 vcc, v39, v34
	v_cndmask_b32_e32 v11, v3, v39, vcc
	v_cmp_lt_i32_e32 vcc, v38, v34
	s_mul_hi_i32 s1, s6, s25
	s_mul_i32 s0, s6, s25
	v_add_u32_e32 v12, s6, v2
	v_cndmask_b32_e32 v14, v3, v38, vcc
	v_cmp_lt_i32_e32 vcc, v37, v34
	v_cndmask_b32_e32 v15, v3, v37, vcc
	v_cmp_lt_i32_e32 vcc, v36, v34
	s_lshl_b64 s[0:1], s[0:1], 2
	v_ashrrev_i32_e32 v13, 31, v12
	v_cndmask_b32_e32 v16, v3, v36, vcc
	v_cmp_lt_i32_e32 vcc, v35, v34
	v_mov_b32_e32 v66, v10
	s_mul_hi_i32 s9, s6, s24
	s_mul_i32 s8, s6, s24
	v_lshlrev_b32_e32 v71, 2, v11
	s_add_u32 s2, s34, s0
	v_lshlrev_b64 v[10:11], 1, v[12:13]
	v_cndmask_b32_e32 v17, v3, v35, vcc
	s_addc_u32 s3, s35, s1
	v_add_co_u32_e32 v10, vcc, s30, v10
	s_lshl_b64 s[0:1], s[8:9], 2
	v_lshlrev_b32_e32 v69, 2, v15
	v_addc_co_u32_e32 v11, vcc, v52, v11, vcc
	v_mov_b32_e32 v15, s1
	v_add_co_u32_e64 v26, s[0:1], s0, v49
	v_lshlrev_b32_e32 v70, 2, v14
	v_lshlrev_b32_e32 v68, 2, v16
	v_mov_b32_e32 v12, s3
	v_mov_b32_e32 v13, s3
	v_add_co_u32_e32 v14, vcc, s2, v6
	v_add_co_u32_e64 v16, s[2:3], s2, v4
	v_addc_co_u32_e64 v27, s[0:1], v50, v15, s[0:1]
	v_addc_co_u32_e64 v12, s[2:3], v12, v5, s[2:3]
	v_addc_co_u32_e32 v13, vcc, v13, v7, vcc
	v_add_co_u32_e64 v30, s[0:1], v16, v51
	v_add_co_u32_e32 v28, vcc, v14, v51
	v_addc_co_u32_e64 v31, s[0:1], 0, v12, s[0:1]
	v_addc_co_u32_e32 v29, vcc, 0, v13, vcc
	global_load_dwordx4 v[72:75], v[30:31], off
	global_load_dwordx4 v[76:79], v[28:29], off
	s_or_b32 s8, s6, 8
	s_or_b32 s9, s6, 16
	;; [unrolled: 1-line block ×7, first 2 shown]
	s_mul_hi_i32 s15, s8, s24
	s_mul_i32 s14, s8, s24
	s_mul_hi_i32 s39, s9, s24
	s_mul_i32 s38, s9, s24
	;; [unrolled: 2-line block ×7, first 2 shown]
	s_lshl_b64 s[2:3], s[14:15], 2
	s_lshl_b64 s[14:15], s[38:39], 2
	s_lshl_b64 s[8:9], s[8:9], 2
	s_lshl_b64 s[38:39], s[40:41], 2
	s_lshl_b64 s[10:11], s[10:11], 2
	s_lshl_b64 s[12:13], s[12:13], 2
	s_lshl_b64 s[40:41], s[42:43], 2
	v_lshlrev_b32_e32 v67, 2, v17
	v_mov_b32_e32 v13, s3
	v_add_co_u32_e32 v24, vcc, s2, v49
	v_mov_b32_e32 v15, s15
	v_add_co_u32_e64 v22, s[0:1], s14, v49
	v_mov_b32_e32 v17, s9
	v_add_co_u32_e64 v20, s[2:3], s8, v49
	;; [unrolled: 2-line block ×5, first 2 shown]
	v_addc_co_u32_e32 v25, vcc, v50, v13, vcc
	v_addc_co_u32_e64 v23, vcc, v50, v15, s[0:1]
	v_addc_co_u32_e64 v21, vcc, v50, v17, s[2:3]
	;; [unrolled: 1-line block ×5, first 2 shown]
	s_waitcnt vmcnt(1)
	ds_write_b128 v40, v[72:75]
	s_waitcnt vmcnt(0)
	ds_write_b128 v41, v[76:79]
	s_waitcnt lgkmcnt(0)
	s_barrier
	ds_read_b128 v[72:75], v43
	ds_read_b128 v[76:79], v42
	ds_read_b128 v[80:83], v43 offset:4608
	v_mov_b32_e32 v65, v8
	v_mov_b32_e32 v8, 0
	s_waitcnt lgkmcnt(1)
	;;#ASMSTART
	v_dot2_f32_f16 v8, v72, v76, v8
	;;#ASMEND
	;;#ASMSTART
	v_dot2_f32_f16 v8, v73, v77, v8
	;;#ASMEND
	v_mov_b32_e32 v9, 0
	;;#ASMSTART
	v_dot2_f32_f16 v8, v74, v78, v8
	;;#ASMEND
	;;#ASMSTART
	v_dot2_f32_f16 v8, v75, v79, v8
	;;#ASMEND
	s_waitcnt lgkmcnt(0)
	;;#ASMSTART
	v_dot2_f32_f16 v9, v80, v76, v9
	;;#ASMEND
	;;#ASMSTART
	v_dot2_f32_f16 v9, v81, v77, v9
	;;#ASMEND
	;;#ASMSTART
	v_dot2_f32_f16 v9, v82, v78, v9
	;;#ASMEND
	;;#ASMSTART
	v_dot2_f32_f16 v9, v83, v79, v9
	;;#ASMEND
	ds_read_b128 v[72:75], v43 offset:16
	ds_read_b128 v[76:79], v42 offset:16
	ds_read_b128 v[80:83], v43 offset:4624
	s_waitcnt lgkmcnt(1)
	;;#ASMSTART
	v_dot2_f32_f16 v8, v72, v76, v8
	;;#ASMEND
	;;#ASMSTART
	v_dot2_f32_f16 v8, v73, v77, v8
	;;#ASMEND
	;;#ASMSTART
	v_dot2_f32_f16 v8, v74, v78, v8
	;;#ASMEND
	;;#ASMSTART
	v_dot2_f32_f16 v8, v75, v79, v8
	;;#ASMEND
	s_waitcnt lgkmcnt(0)
	;;#ASMSTART
	v_dot2_f32_f16 v9, v80, v76, v9
	;;#ASMEND
	;;#ASMSTART
	v_dot2_f32_f16 v9, v81, v77, v9
	;;#ASMEND
	;;#ASMSTART
	v_dot2_f32_f16 v9, v82, v78, v9
	;;#ASMEND
	;;#ASMSTART
	v_dot2_f32_f16 v9, v83, v79, v9
	;;#ASMEND
	ds_read_b128 v[72:75], v43 offset:32
	ds_read_b128 v[76:79], v42 offset:32
	ds_read_b128 v[80:83], v43 offset:4640
	s_waitcnt lgkmcnt(1)
	;;#ASMSTART
	v_dot2_f32_f16 v8, v72, v76, v8
	;;#ASMEND
	;;#ASMSTART
	v_dot2_f32_f16 v8, v73, v77, v8
	;;#ASMEND
	;; [unrolled: 29-line block ×7, first 2 shown]
	;;#ASMSTART
	v_dot2_f32_f16 v8, v74, v78, v8
	;;#ASMEND
	;;#ASMSTART
	v_dot2_f32_f16 v8, v75, v79, v8
	;;#ASMEND
	s_waitcnt lgkmcnt(0)
	;;#ASMSTART
	v_dot2_f32_f16 v9, v80, v76, v9
	;;#ASMEND
	;;#ASMSTART
	v_dot2_f32_f16 v9, v81, v77, v9
	;;#ASMEND
	;;#ASMSTART
	v_dot2_f32_f16 v9, v82, v78, v9
	;;#ASMEND
	;;#ASMSTART
	v_dot2_f32_f16 v9, v83, v79, v9
	;;#ASMEND
	s_barrier
	global_load_dwordx4 v[72:75], v[30:31], off offset:128
	global_load_dwordx4 v[76:79], v[28:29], off offset:128
	v_mov_b32_e32 v19, s39
	v_add_co_u32_e64 v18, s[8:9], s38, v49
	v_addc_co_u32_e64 v19, vcc, v50, v19, s[8:9]
	s_waitcnt vmcnt(1)
	ds_write_b128 v40, v[72:75]
	s_waitcnt vmcnt(0)
	ds_write_b128 v41, v[76:79]
	s_waitcnt lgkmcnt(0)
	s_barrier
	ds_read_b128 v[72:75], v43
	ds_read_b128 v[76:79], v42 offset:128
	ds_read_b128 v[80:83], v43 offset:4608
	s_waitcnt lgkmcnt(1)
	;;#ASMSTART
	v_dot2_f32_f16 v8, v72, v76, v8
	;;#ASMEND
	;;#ASMSTART
	v_dot2_f32_f16 v8, v73, v77, v8
	;;#ASMEND
	;;#ASMSTART
	v_dot2_f32_f16 v8, v74, v78, v8
	;;#ASMEND
	;;#ASMSTART
	v_dot2_f32_f16 v8, v75, v79, v8
	;;#ASMEND
	s_waitcnt lgkmcnt(0)
	;;#ASMSTART
	v_dot2_f32_f16 v9, v80, v76, v9
	;;#ASMEND
	;;#ASMSTART
	v_dot2_f32_f16 v9, v81, v77, v9
	;;#ASMEND
	;;#ASMSTART
	v_dot2_f32_f16 v9, v82, v78, v9
	;;#ASMEND
	;;#ASMSTART
	v_dot2_f32_f16 v9, v83, v79, v9
	;;#ASMEND
	ds_read_b128 v[72:75], v43 offset:16
	ds_read_b128 v[76:79], v42 offset:144
	ds_read_b128 v[80:83], v43 offset:4624
	s_waitcnt lgkmcnt(1)
	;;#ASMSTART
	v_dot2_f32_f16 v8, v72, v76, v8
	;;#ASMEND
	;;#ASMSTART
	v_dot2_f32_f16 v8, v73, v77, v8
	;;#ASMEND
	;;#ASMSTART
	v_dot2_f32_f16 v8, v74, v78, v8
	;;#ASMEND
	;;#ASMSTART
	v_dot2_f32_f16 v8, v75, v79, v8
	;;#ASMEND
	s_waitcnt lgkmcnt(0)
	;;#ASMSTART
	v_dot2_f32_f16 v9, v80, v76, v9
	;;#ASMEND
	;;#ASMSTART
	v_dot2_f32_f16 v9, v81, v77, v9
	;;#ASMEND
	;;#ASMSTART
	v_dot2_f32_f16 v9, v82, v78, v9
	;;#ASMEND
	;;#ASMSTART
	v_dot2_f32_f16 v9, v83, v79, v9
	;;#ASMEND
	ds_read_b128 v[72:75], v43 offset:32
	;; [unrolled: 29-line block ×7, first 2 shown]
	ds_read_b128 v[76:79], v42 offset:240
	ds_read_b128 v[80:83], v43 offset:4720
	s_waitcnt lgkmcnt(1)
	;;#ASMSTART
	v_dot2_f32_f16 v8, v72, v76, v8
	;;#ASMEND
	;;#ASMSTART
	v_dot2_f32_f16 v8, v73, v77, v8
	;;#ASMEND
	;; [unrolled: 3-line block ×4, first 2 shown]
	s_waitcnt lgkmcnt(0)
	;;#ASMSTART
	v_dot2_f32_f16 v9, v80, v76, v9
	;;#ASMEND
	;;#ASMSTART
	v_dot2_f32_f16 v9, v81, v77, v9
	;;#ASMEND
	;; [unrolled: 3-line block ×4, first 2 shown]
	s_barrier
	global_load_dwordx4 v[72:75], v[30:31], off offset:256
	global_load_dwordx4 v[76:79], v[28:29], off offset:256
	s_waitcnt vmcnt(1)
	ds_write_b128 v40, v[72:75]
	s_waitcnt vmcnt(0)
	ds_write_b128 v41, v[76:79]
	s_waitcnt lgkmcnt(0)
	s_barrier
	ds_read_b128 v[72:75], v43
	ds_read_b128 v[76:79], v42 offset:256
	ds_read_b128 v[80:83], v43 offset:4608
	s_waitcnt lgkmcnt(1)
	;;#ASMSTART
	v_dot2_f32_f16 v8, v72, v76, v8
	;;#ASMEND
	;;#ASMSTART
	v_dot2_f32_f16 v8, v73, v77, v8
	;;#ASMEND
	;;#ASMSTART
	v_dot2_f32_f16 v8, v74, v78, v8
	;;#ASMEND
	;;#ASMSTART
	v_dot2_f32_f16 v8, v75, v79, v8
	;;#ASMEND
	s_waitcnt lgkmcnt(0)
	;;#ASMSTART
	v_dot2_f32_f16 v9, v80, v76, v9
	;;#ASMEND
	;;#ASMSTART
	v_dot2_f32_f16 v9, v81, v77, v9
	;;#ASMEND
	;;#ASMSTART
	v_dot2_f32_f16 v9, v82, v78, v9
	;;#ASMEND
	;;#ASMSTART
	v_dot2_f32_f16 v9, v83, v79, v9
	;;#ASMEND
	ds_read_b128 v[72:75], v43 offset:16
	ds_read_b128 v[76:79], v42 offset:272
	ds_read_b128 v[80:83], v43 offset:4624
	s_waitcnt lgkmcnt(1)
	;;#ASMSTART
	v_dot2_f32_f16 v8, v72, v76, v8
	;;#ASMEND
	;;#ASMSTART
	v_dot2_f32_f16 v8, v73, v77, v8
	;;#ASMEND
	;;#ASMSTART
	v_dot2_f32_f16 v8, v74, v78, v8
	;;#ASMEND
	;;#ASMSTART
	v_dot2_f32_f16 v8, v75, v79, v8
	;;#ASMEND
	s_waitcnt lgkmcnt(0)
	;;#ASMSTART
	v_dot2_f32_f16 v9, v80, v76, v9
	;;#ASMEND
	;;#ASMSTART
	v_dot2_f32_f16 v9, v81, v77, v9
	;;#ASMEND
	;;#ASMSTART
	v_dot2_f32_f16 v9, v82, v78, v9
	;;#ASMEND
	;;#ASMSTART
	v_dot2_f32_f16 v9, v83, v79, v9
	;;#ASMEND
	ds_read_b128 v[72:75], v43 offset:32
	;; [unrolled: 29-line block ×7, first 2 shown]
	ds_read_b128 v[76:79], v42 offset:368
	ds_read_b128 v[80:83], v43 offset:4720
	s_waitcnt lgkmcnt(1)
	;;#ASMSTART
	v_dot2_f32_f16 v8, v72, v76, v8
	;;#ASMEND
	;;#ASMSTART
	v_dot2_f32_f16 v8, v73, v77, v8
	;;#ASMEND
	;; [unrolled: 3-line block ×4, first 2 shown]
	s_waitcnt lgkmcnt(0)
	;;#ASMSTART
	v_dot2_f32_f16 v9, v80, v76, v9
	;;#ASMEND
	;;#ASMSTART
	v_dot2_f32_f16 v9, v81, v77, v9
	;;#ASMEND
	;; [unrolled: 3-line block ×4, first 2 shown]
	s_barrier
	global_load_dwordx4 v[72:75], v[30:31], off offset:384
	global_load_dwordx4 v[76:79], v[28:29], off offset:384
	s_waitcnt vmcnt(1)
	ds_write_b128 v40, v[72:75]
	s_waitcnt vmcnt(0)
	ds_write_b128 v41, v[76:79]
	s_waitcnt lgkmcnt(0)
	s_barrier
	ds_read_b128 v[72:75], v43
	ds_read_b128 v[76:79], v42 offset:384
	ds_read_b128 v[80:83], v43 offset:4608
	s_waitcnt lgkmcnt(1)
	;;#ASMSTART
	v_dot2_f32_f16 v8, v72, v76, v8
	;;#ASMEND
	;;#ASMSTART
	v_dot2_f32_f16 v8, v73, v77, v8
	;;#ASMEND
	;;#ASMSTART
	v_dot2_f32_f16 v8, v74, v78, v8
	;;#ASMEND
	;;#ASMSTART
	v_dot2_f32_f16 v8, v75, v79, v8
	;;#ASMEND
	s_waitcnt lgkmcnt(0)
	;;#ASMSTART
	v_dot2_f32_f16 v9, v80, v76, v9
	;;#ASMEND
	;;#ASMSTART
	v_dot2_f32_f16 v9, v81, v77, v9
	;;#ASMEND
	;;#ASMSTART
	v_dot2_f32_f16 v9, v82, v78, v9
	;;#ASMEND
	;;#ASMSTART
	v_dot2_f32_f16 v9, v83, v79, v9
	;;#ASMEND
	ds_read_b128 v[72:75], v43 offset:16
	ds_read_b128 v[76:79], v42 offset:400
	ds_read_b128 v[80:83], v43 offset:4624
	s_waitcnt lgkmcnt(1)
	;;#ASMSTART
	v_dot2_f32_f16 v8, v72, v76, v8
	;;#ASMEND
	;;#ASMSTART
	v_dot2_f32_f16 v8, v73, v77, v8
	;;#ASMEND
	;;#ASMSTART
	v_dot2_f32_f16 v8, v74, v78, v8
	;;#ASMEND
	;;#ASMSTART
	v_dot2_f32_f16 v8, v75, v79, v8
	;;#ASMEND
	s_waitcnt lgkmcnt(0)
	;;#ASMSTART
	v_dot2_f32_f16 v9, v80, v76, v9
	;;#ASMEND
	;;#ASMSTART
	v_dot2_f32_f16 v9, v81, v77, v9
	;;#ASMEND
	;;#ASMSTART
	v_dot2_f32_f16 v9, v82, v78, v9
	;;#ASMEND
	;;#ASMSTART
	v_dot2_f32_f16 v9, v83, v79, v9
	;;#ASMEND
	ds_read_b128 v[72:75], v43 offset:32
	;; [unrolled: 29-line block ×7, first 2 shown]
	ds_read_b128 v[76:79], v42 offset:496
	ds_read_b128 v[80:83], v43 offset:4720
	s_waitcnt lgkmcnt(1)
	;;#ASMSTART
	v_dot2_f32_f16 v8, v72, v76, v8
	;;#ASMEND
	;;#ASMSTART
	v_dot2_f32_f16 v8, v73, v77, v8
	;;#ASMEND
	;; [unrolled: 3-line block ×4, first 2 shown]
	s_waitcnt lgkmcnt(0)
	;;#ASMSTART
	v_dot2_f32_f16 v9, v80, v76, v9
	;;#ASMEND
	;;#ASMSTART
	v_dot2_f32_f16 v9, v81, v77, v9
	;;#ASMEND
	;; [unrolled: 3-line block ×4, first 2 shown]
	s_barrier
	global_load_dwordx4 v[72:75], v[30:31], off offset:512
	global_load_dwordx4 v[76:79], v[28:29], off offset:512
	s_waitcnt vmcnt(1)
	ds_write_b128 v40, v[72:75]
	s_waitcnt vmcnt(0)
	ds_write_b128 v41, v[76:79]
	s_waitcnt lgkmcnt(0)
	s_barrier
	ds_read_b128 v[72:75], v43
	ds_read_b128 v[76:79], v42 offset:512
	ds_read_b128 v[80:83], v43 offset:4608
	s_waitcnt lgkmcnt(1)
	;;#ASMSTART
	v_dot2_f32_f16 v8, v72, v76, v8
	;;#ASMEND
	;;#ASMSTART
	v_dot2_f32_f16 v8, v73, v77, v8
	;;#ASMEND
	;;#ASMSTART
	v_dot2_f32_f16 v8, v74, v78, v8
	;;#ASMEND
	;;#ASMSTART
	v_dot2_f32_f16 v8, v75, v79, v8
	;;#ASMEND
	s_waitcnt lgkmcnt(0)
	;;#ASMSTART
	v_dot2_f32_f16 v9, v80, v76, v9
	;;#ASMEND
	;;#ASMSTART
	v_dot2_f32_f16 v9, v81, v77, v9
	;;#ASMEND
	;;#ASMSTART
	v_dot2_f32_f16 v9, v82, v78, v9
	;;#ASMEND
	;;#ASMSTART
	v_dot2_f32_f16 v9, v83, v79, v9
	;;#ASMEND
	ds_read_b128 v[72:75], v43 offset:16
	ds_read_b128 v[76:79], v42 offset:528
	ds_read_b128 v[80:83], v43 offset:4624
	s_waitcnt lgkmcnt(1)
	;;#ASMSTART
	v_dot2_f32_f16 v8, v72, v76, v8
	;;#ASMEND
	;;#ASMSTART
	v_dot2_f32_f16 v8, v73, v77, v8
	;;#ASMEND
	;;#ASMSTART
	v_dot2_f32_f16 v8, v74, v78, v8
	;;#ASMEND
	;;#ASMSTART
	v_dot2_f32_f16 v8, v75, v79, v8
	;;#ASMEND
	s_waitcnt lgkmcnt(0)
	;;#ASMSTART
	v_dot2_f32_f16 v9, v80, v76, v9
	;;#ASMEND
	;;#ASMSTART
	v_dot2_f32_f16 v9, v81, v77, v9
	;;#ASMEND
	;;#ASMSTART
	v_dot2_f32_f16 v9, v82, v78, v9
	;;#ASMEND
	;;#ASMSTART
	v_dot2_f32_f16 v9, v83, v79, v9
	;;#ASMEND
	ds_read_b128 v[72:75], v43 offset:32
	;; [unrolled: 29-line block ×7, first 2 shown]
	ds_read_b128 v[76:79], v42 offset:624
	ds_read_b128 v[80:83], v43 offset:4720
	s_waitcnt lgkmcnt(1)
	;;#ASMSTART
	v_dot2_f32_f16 v8, v72, v76, v8
	;;#ASMEND
	;;#ASMSTART
	v_dot2_f32_f16 v8, v73, v77, v8
	;;#ASMEND
	;; [unrolled: 3-line block ×4, first 2 shown]
	s_waitcnt lgkmcnt(0)
	;;#ASMSTART
	v_dot2_f32_f16 v9, v80, v76, v9
	;;#ASMEND
	;;#ASMSTART
	v_dot2_f32_f16 v9, v81, v77, v9
	;;#ASMEND
	;;#ASMSTART
	v_dot2_f32_f16 v9, v82, v78, v9
	;;#ASMEND
	;;#ASMSTART
	v_dot2_f32_f16 v9, v83, v79, v9
	;;#ASMEND
	s_barrier
	global_load_dwordx4 v[72:75], v[30:31], off offset:640
	global_load_dwordx4 v[76:79], v[28:29], off offset:640
	s_waitcnt vmcnt(1)
	ds_write_b128 v40, v[72:75]
	s_waitcnt vmcnt(0)
	ds_write_b128 v41, v[76:79]
	s_waitcnt lgkmcnt(0)
	s_barrier
	ds_read_b128 v[72:75], v43
	ds_read_b128 v[76:79], v42 offset:640
	ds_read_b128 v[80:83], v43 offset:4608
	s_waitcnt lgkmcnt(1)
	;;#ASMSTART
	v_dot2_f32_f16 v8, v72, v76, v8
	;;#ASMEND
	;;#ASMSTART
	v_dot2_f32_f16 v8, v73, v77, v8
	;;#ASMEND
	;;#ASMSTART
	v_dot2_f32_f16 v8, v74, v78, v8
	;;#ASMEND
	;;#ASMSTART
	v_dot2_f32_f16 v8, v75, v79, v8
	;;#ASMEND
	s_waitcnt lgkmcnt(0)
	;;#ASMSTART
	v_dot2_f32_f16 v9, v80, v76, v9
	;;#ASMEND
	;;#ASMSTART
	v_dot2_f32_f16 v9, v81, v77, v9
	;;#ASMEND
	;;#ASMSTART
	v_dot2_f32_f16 v9, v82, v78, v9
	;;#ASMEND
	;;#ASMSTART
	v_dot2_f32_f16 v9, v83, v79, v9
	;;#ASMEND
	ds_read_b128 v[72:75], v43 offset:16
	ds_read_b128 v[76:79], v42 offset:656
	ds_read_b128 v[80:83], v43 offset:4624
	s_waitcnt lgkmcnt(1)
	;;#ASMSTART
	v_dot2_f32_f16 v8, v72, v76, v8
	;;#ASMEND
	;;#ASMSTART
	v_dot2_f32_f16 v8, v73, v77, v8
	;;#ASMEND
	;;#ASMSTART
	v_dot2_f32_f16 v8, v74, v78, v8
	;;#ASMEND
	;;#ASMSTART
	v_dot2_f32_f16 v8, v75, v79, v8
	;;#ASMEND
	s_waitcnt lgkmcnt(0)
	;;#ASMSTART
	v_dot2_f32_f16 v9, v80, v76, v9
	;;#ASMEND
	;;#ASMSTART
	v_dot2_f32_f16 v9, v81, v77, v9
	;;#ASMEND
	;;#ASMSTART
	v_dot2_f32_f16 v9, v82, v78, v9
	;;#ASMEND
	;;#ASMSTART
	v_dot2_f32_f16 v9, v83, v79, v9
	;;#ASMEND
	ds_read_b128 v[72:75], v43 offset:32
	;; [unrolled: 29-line block ×7, first 2 shown]
	ds_read_b128 v[76:79], v42 offset:752
	ds_read_b128 v[80:83], v43 offset:4720
	s_waitcnt lgkmcnt(1)
	;;#ASMSTART
	v_dot2_f32_f16 v8, v72, v76, v8
	;;#ASMEND
	;;#ASMSTART
	v_dot2_f32_f16 v8, v73, v77, v8
	;;#ASMEND
	;; [unrolled: 3-line block ×4, first 2 shown]
	s_waitcnt lgkmcnt(0)
	;;#ASMSTART
	v_dot2_f32_f16 v9, v80, v76, v9
	;;#ASMEND
	;;#ASMSTART
	v_dot2_f32_f16 v9, v81, v77, v9
	;;#ASMEND
	;; [unrolled: 3-line block ×4, first 2 shown]
	s_barrier
	global_load_dwordx4 v[72:75], v[30:31], off offset:768
	global_load_dwordx4 v[76:79], v[28:29], off offset:768
	s_waitcnt vmcnt(1)
	ds_write_b128 v40, v[72:75]
	s_waitcnt vmcnt(0)
	ds_write_b128 v41, v[76:79]
	s_waitcnt lgkmcnt(0)
	s_barrier
	ds_read_b128 v[72:75], v43
	ds_read_b128 v[76:79], v42 offset:768
	ds_read_b128 v[80:83], v43 offset:4608
	s_waitcnt lgkmcnt(1)
	;;#ASMSTART
	v_dot2_f32_f16 v8, v72, v76, v8
	;;#ASMEND
	;;#ASMSTART
	v_dot2_f32_f16 v8, v73, v77, v8
	;;#ASMEND
	;;#ASMSTART
	v_dot2_f32_f16 v8, v74, v78, v8
	;;#ASMEND
	;;#ASMSTART
	v_dot2_f32_f16 v8, v75, v79, v8
	;;#ASMEND
	s_waitcnt lgkmcnt(0)
	;;#ASMSTART
	v_dot2_f32_f16 v9, v80, v76, v9
	;;#ASMEND
	;;#ASMSTART
	v_dot2_f32_f16 v9, v81, v77, v9
	;;#ASMEND
	;;#ASMSTART
	v_dot2_f32_f16 v9, v82, v78, v9
	;;#ASMEND
	;;#ASMSTART
	v_dot2_f32_f16 v9, v83, v79, v9
	;;#ASMEND
	ds_read_b128 v[72:75], v43 offset:16
	ds_read_b128 v[76:79], v42 offset:784
	ds_read_b128 v[80:83], v43 offset:4624
	s_waitcnt lgkmcnt(1)
	;;#ASMSTART
	v_dot2_f32_f16 v8, v72, v76, v8
	;;#ASMEND
	;;#ASMSTART
	v_dot2_f32_f16 v8, v73, v77, v8
	;;#ASMEND
	;;#ASMSTART
	v_dot2_f32_f16 v8, v74, v78, v8
	;;#ASMEND
	;;#ASMSTART
	v_dot2_f32_f16 v8, v75, v79, v8
	;;#ASMEND
	s_waitcnt lgkmcnt(0)
	;;#ASMSTART
	v_dot2_f32_f16 v9, v80, v76, v9
	;;#ASMEND
	;;#ASMSTART
	v_dot2_f32_f16 v9, v81, v77, v9
	;;#ASMEND
	;;#ASMSTART
	v_dot2_f32_f16 v9, v82, v78, v9
	;;#ASMEND
	;;#ASMSTART
	v_dot2_f32_f16 v9, v83, v79, v9
	;;#ASMEND
	ds_read_b128 v[72:75], v43 offset:32
	;; [unrolled: 29-line block ×7, first 2 shown]
	ds_read_b128 v[76:79], v42 offset:880
	ds_read_b128 v[80:83], v43 offset:4720
	s_waitcnt lgkmcnt(1)
	;;#ASMSTART
	v_dot2_f32_f16 v8, v72, v76, v8
	;;#ASMEND
	;;#ASMSTART
	v_dot2_f32_f16 v8, v73, v77, v8
	;;#ASMEND
	;;#ASMSTART
	v_dot2_f32_f16 v8, v74, v78, v8
	;;#ASMEND
	;;#ASMSTART
	v_dot2_f32_f16 v8, v75, v79, v8
	;;#ASMEND
	s_waitcnt lgkmcnt(0)
	;;#ASMSTART
	v_dot2_f32_f16 v9, v80, v76, v9
	;;#ASMEND
	;;#ASMSTART
	v_dot2_f32_f16 v9, v81, v77, v9
	;;#ASMEND
	;; [unrolled: 3-line block ×4, first 2 shown]
	s_barrier
	global_load_dwordx4 v[72:75], v[30:31], off offset:896
	global_load_dwordx4 v[76:79], v[28:29], off offset:896
	s_waitcnt vmcnt(1)
	ds_write_b128 v40, v[72:75]
	s_waitcnt vmcnt(0)
	ds_write_b128 v41, v[76:79]
	s_waitcnt lgkmcnt(0)
	s_barrier
	ds_read_b128 v[28:31], v43
	ds_read_b128 v[72:75], v42 offset:896
	ds_read_b128 v[76:79], v43 offset:4608
	s_waitcnt lgkmcnt(1)
	;;#ASMSTART
	v_dot2_f32_f16 v8, v28, v72, v8
	;;#ASMEND
	;;#ASMSTART
	v_dot2_f32_f16 v8, v29, v73, v8
	;;#ASMEND
	;;#ASMSTART
	v_dot2_f32_f16 v8, v30, v74, v8
	;;#ASMEND
	;;#ASMSTART
	v_dot2_f32_f16 v8, v31, v75, v8
	;;#ASMEND
	s_waitcnt lgkmcnt(0)
	;;#ASMSTART
	v_dot2_f32_f16 v9, v76, v72, v9
	;;#ASMEND
	;;#ASMSTART
	v_dot2_f32_f16 v9, v77, v73, v9
	;;#ASMEND
	;;#ASMSTART
	v_dot2_f32_f16 v9, v78, v74, v9
	;;#ASMEND
	;;#ASMSTART
	v_dot2_f32_f16 v9, v79, v75, v9
	;;#ASMEND
	ds_read_b128 v[28:31], v43 offset:16
	ds_read_b128 v[72:75], v42 offset:912
	ds_read_b128 v[76:79], v43 offset:4624
	s_waitcnt lgkmcnt(1)
	;;#ASMSTART
	v_dot2_f32_f16 v8, v28, v72, v8
	;;#ASMEND
	;;#ASMSTART
	v_dot2_f32_f16 v8, v29, v73, v8
	;;#ASMEND
	;;#ASMSTART
	v_dot2_f32_f16 v8, v30, v74, v8
	;;#ASMEND
	;;#ASMSTART
	v_dot2_f32_f16 v8, v31, v75, v8
	;;#ASMEND
	s_waitcnt lgkmcnt(0)
	;;#ASMSTART
	v_dot2_f32_f16 v9, v76, v72, v9
	;;#ASMEND
	;;#ASMSTART
	v_dot2_f32_f16 v9, v77, v73, v9
	;;#ASMEND
	;;#ASMSTART
	v_dot2_f32_f16 v9, v78, v74, v9
	;;#ASMEND
	;;#ASMSTART
	v_dot2_f32_f16 v9, v79, v75, v9
	;;#ASMEND
	ds_read_b128 v[28:31], v43 offset:32
	;; [unrolled: 29-line block ×7, first 2 shown]
	ds_read_b128 v[72:75], v42 offset:1008
	ds_read_b128 v[76:79], v43 offset:4720
	s_waitcnt lgkmcnt(1)
	;;#ASMSTART
	v_dot2_f32_f16 v8, v28, v72, v8
	;;#ASMEND
	;;#ASMSTART
	v_dot2_f32_f16 v8, v29, v73, v8
	;;#ASMEND
	;; [unrolled: 3-line block ×4, first 2 shown]
	s_waitcnt lgkmcnt(0)
	;;#ASMSTART
	v_dot2_f32_f16 v9, v76, v72, v9
	;;#ASMEND
	;;#ASMSTART
	v_dot2_f32_f16 v9, v77, v73, v9
	;;#ASMEND
	;; [unrolled: 3-line block ×4, first 2 shown]
	flat_load_ushort v76, v[10:11] offset:64
	flat_load_ushort v77, v[10:11]
	s_waitcnt lgkmcnt(0)
	s_barrier
	global_load_dwordx4 v[28:31], v[26:27], off
	global_load_dwordx4 v[72:75], v[26:27], off offset:512
	s_waitcnt vmcnt(0)
	v_cvt_f32_f16_e32 v11, v76
	v_cvt_f32_f16_e32 v10, v77
	v_pk_add_f32 v[10:11], v[8:9], v[10:11]
	v_add_f32_e32 v8, 0x40051340, v10
	v_add_f32_e32 v9, 0x40051340, v11
	v_max3_f32 v8, v65, v8, v9
	ds_bpermute_b32 v9, v71, v8
	s_waitcnt lgkmcnt(0)
	v_max_f32_e32 v9, v9, v9
	v_max_f32_e32 v8, v8, v9
	ds_bpermute_b32 v9, v70, v8
	s_waitcnt lgkmcnt(0)
	v_max_f32_e32 v9, v9, v9
	v_max_f32_e32 v8, v8, v9
	;; [unrolled: 4-line block ×5, first 2 shown]
	v_sub_f32_e32 v9, v65, v8
	v_pk_add_f32 v[10:11], v[10:11], v[8:9] op_sel_hi:[1,0] neg_lo:[0,1] neg_hi:[0,1]
	v_mul_f32_e32 v27, 0x3fb8aa3b, v10
	v_mul_f32_e32 v26, 0x3fb8aa3b, v11
	v_fma_f32 v69, v10, s31, -v27
	v_rndne_f32_e32 v70, v27
	v_mul_f32_e32 v65, 0x3fb8aa3b, v9
	v_fma_f32 v67, v11, s31, -v26
	v_rndne_f32_e32 v68, v26
	v_fmac_f32_e32 v69, 0x32a5705f, v10
	v_sub_f32_e32 v27, v27, v70
	v_fma_f32 v71, v9, s31, -v65
	v_rndne_f32_e32 v76, v65
	v_fmac_f32_e32 v67, 0x32a5705f, v11
	v_sub_f32_e32 v26, v26, v68
	v_add_f32_e32 v27, v27, v69
	v_cvt_i32_f32_e32 v70, v70
	v_fmac_f32_e32 v71, 0x32a5705f, v9
	v_sub_f32_e32 v65, v65, v76
	v_add_f32_e32 v26, v26, v67
	v_exp_f32_e32 v27, v27
	v_cvt_i32_f32_e32 v68, v68
	v_add_f32_e32 v65, v65, v71
	v_exp_f32_e32 v26, v26
	v_cvt_i32_f32_e32 v76, v76
	v_exp_f32_e32 v65, v65
	v_ldexp_f32 v27, v27, v70
	v_cmp_ngt_f32_e32 vcc, s36, v10
	v_ldexp_f32 v26, v26, v68
	v_cmp_ngt_f32_e64 s[2:3], s36, v11
	v_cndmask_b32_e32 v27, 0, v27, vcc
	v_cmp_nlt_f32_e32 vcc, s37, v10
	v_ldexp_f32 v65, v65, v76
	v_cmp_ngt_f32_e64 s[0:1], s36, v9
	v_cndmask_b32_e64 v26, 0, v26, s[2:3]
	v_cmp_nlt_f32_e64 s[2:3], s37, v11
	v_cndmask_b32_e32 v11, v53, v27, vcc
	v_cndmask_b32_e64 v10, 0, v65, s[0:1]
	v_cmp_nlt_f32_e64 s[0:1], s37, v9
	v_cndmask_b32_e64 v9, v53, v26, s[2:3]
	v_cvt_f16_f32_e32 v27, v11
	v_cndmask_b32_e64 v26, v53, v10, s[0:1]
	v_add_f32_e32 v10, v11, v9
	v_cvt_f16_f32_e32 v9, v9
	v_cvt_f16_f32_e32 v11, v26
	v_fmac_f32_e32 v10, v66, v26
	ds_write_b16 v45, v27
	ds_write_b16 v45, v9 offset:64
	ds_write_b128 v46, v[28:31]
	ds_write_b128 v47, v[72:75]
	s_waitcnt lgkmcnt(0)
	s_barrier
	ds_read2_b64 v[26:29], v48 offset1:32
	ds_read2_b64 v[66:69], v48 offset0:64 offset1:96
	ds_read_b128 v[70:73], v44
	ds_read2_b64 v[74:77], v48 offset0:128 offset1:160
	ds_read2_b64 v[78:81], v48 offset0:192 offset1:224
	ds_read2_b64 v[82:85], v54 offset1:32
	ds_read2_b64 v[86:89], v54 offset0:64 offset1:96
	ds_read2_b64 v[90:93], v54 offset0:128 offset1:160
	ds_read2_b64 v[94:97], v54 offset0:192 offset1:224
	ds_read2_b64 v[98:101], v55 offset1:32
	ds_read2_b64 v[102:105], v55 offset0:64 offset1:96
	;; [unrolled: 4-line block ×3, first 2 shown]
	ds_read2_b64 v[122:125], v56 offset0:128 offset1:160
	ds_read2_b64 v[126:129], v56 offset0:192 offset1:224
	s_waitcnt lgkmcnt(0)
	s_barrier
	global_load_dwordx4 v[130:133], v[24:25], off
	global_load_dwordx4 v[134:137], v[24:25], off offset:512
	v_pk_mul_f16 v9, v11, v62 op_sel_hi:[0,1]
	v_pk_mul_f16 v24, v11, v61 op_sel_hi:[0,1]
	;; [unrolled: 1-line block ×8, first 2 shown]
	v_pk_fma_f16 v9, v28, v70, v9 op_sel_hi:[1,0,1]
	v_pk_fma_f16 v24, v29, v70, v24 op_sel_hi:[1,0,1]
	v_pk_fma_f16 v25, v66, v70, v25 op_sel_hi:[1,0,1]
	v_pk_fma_f16 v28, v67, v70, v30 op_sel_hi:[1,0,1]
	v_pk_fma_f16 v29, v68, v70, v31 op_sel_hi:[1,0,1]
	v_pk_fma_f16 v30, v69, v70, v57 op_sel_hi:[1,0,1]
	v_pk_fma_f16 v26, v64, v11, v26 op_sel_hi:[1,0,1]
	v_pk_fma_f16 v11, v63, v11, v27 op_sel_hi:[1,0,1]
	v_pk_fma_f16 v9, v76, v70, v9 op_sel:[0,1,0]
	v_pk_fma_f16 v24, v77, v70, v24 op_sel:[0,1,0]
	v_pk_fma_f16 v25, v78, v70, v25 op_sel:[0,1,0]
	v_pk_fma_f16 v27, v79, v70, v28 op_sel:[0,1,0]
	v_pk_fma_f16 v28, v80, v70, v29 op_sel:[0,1,0]
	v_pk_fma_f16 v29, v81, v70, v30 op_sel:[0,1,0]
	v_pk_fma_f16 v26, v74, v70, v26 op_sel:[0,1,0]
	v_pk_fma_f16 v11, v75, v70, v11 op_sel:[0,1,0]
	v_pk_fma_f16 v9, v84, v71, v9 op_sel_hi:[1,0,1]
	v_pk_fma_f16 v24, v85, v71, v24 op_sel_hi:[1,0,1]
	v_pk_fma_f16 v25, v86, v71, v25 op_sel_hi:[1,0,1]
	v_pk_fma_f16 v27, v87, v71, v27 op_sel_hi:[1,0,1]
	v_pk_fma_f16 v28, v88, v71, v28 op_sel_hi:[1,0,1]
	v_pk_fma_f16 v29, v89, v71, v29 op_sel_hi:[1,0,1]
	v_pk_fma_f16 v26, v82, v71, v26 op_sel_hi:[1,0,1]
	v_pk_fma_f16 v11, v83, v71, v11 op_sel_hi:[1,0,1]
	v_pk_fma_f16 v9, v92, v71, v9 op_sel:[0,1,0]
	v_pk_fma_f16 v24, v93, v71, v24 op_sel:[0,1,0]
	v_pk_fma_f16 v25, v94, v71, v25 op_sel:[0,1,0]
	v_pk_fma_f16 v27, v95, v71, v27 op_sel:[0,1,0]
	v_pk_fma_f16 v28, v96, v71, v28 op_sel:[0,1,0]
	v_pk_fma_f16 v29, v97, v71, v29 op_sel:[0,1,0]
	v_pk_fma_f16 v26, v90, v71, v26 op_sel:[0,1,0]
	v_pk_fma_f16 v11, v91, v71, v11 op_sel:[0,1,0]
	;; [unrolled: 16-line block ×4, first 2 shown]
	s_waitcnt vmcnt(1)
	ds_write_b128 v46, v[130:133]
	s_waitcnt vmcnt(0)
	ds_write_b128 v47, v[134:137]
	s_waitcnt lgkmcnt(0)
	s_barrier
	ds_read2_b64 v[24:27], v48 offset1:32
	ds_read2_b64 v[28:31], v48 offset0:64 offset1:96
	ds_read_b128 v[58:61], v44 offset:16
	ds_read2_b64 v[62:65], v48 offset0:128 offset1:160
	ds_read2_b64 v[66:69], v48 offset0:192 offset1:224
	ds_read2_b64 v[70:73], v54 offset1:32
	ds_read2_b64 v[74:77], v54 offset0:64 offset1:96
	ds_read2_b64 v[78:81], v54 offset0:128 offset1:160
	ds_read2_b64 v[82:85], v54 offset0:192 offset1:224
	ds_read2_b64 v[86:89], v55 offset1:32
	ds_read2_b64 v[90:93], v55 offset0:64 offset1:96
	;; [unrolled: 4-line block ×3, first 2 shown]
	ds_read2_b64 v[110:113], v56 offset0:128 offset1:160
	ds_read2_b64 v[114:117], v56 offset0:192 offset1:224
	s_waitcnt lgkmcnt(0)
	s_barrier
	global_load_dwordx4 v[118:121], v[22:23], off
	global_load_dwordx4 v[122:125], v[22:23], off offset:512
	v_pk_fma_f16 v22, v24, v58, v138 op_sel_hi:[1,0,1]
	v_pk_fma_f16 v11, v25, v58, v11 op_sel_hi:[1,0,1]
	v_pk_fma_f16 v9, v26, v58, v9 op_sel_hi:[1,0,1]
	v_pk_fma_f16 v23, v27, v58, v57 op_sel_hi:[1,0,1]
	v_pk_fma_f16 v24, v28, v58, v126 op_sel_hi:[1,0,1]
	v_pk_fma_f16 v25, v29, v58, v127 op_sel_hi:[1,0,1]
	v_pk_fma_f16 v26, v30, v58, v128 op_sel_hi:[1,0,1]
	v_pk_fma_f16 v27, v31, v58, v129 op_sel_hi:[1,0,1]
	v_pk_fma_f16 v22, v62, v58, v22 op_sel:[0,1,0]
	v_pk_fma_f16 v11, v63, v58, v11 op_sel:[0,1,0]
	v_pk_fma_f16 v9, v64, v58, v9 op_sel:[0,1,0]
	v_pk_fma_f16 v23, v65, v58, v23 op_sel:[0,1,0]
	v_pk_fma_f16 v24, v66, v58, v24 op_sel:[0,1,0]
	v_pk_fma_f16 v25, v67, v58, v25 op_sel:[0,1,0]
	v_pk_fma_f16 v26, v68, v58, v26 op_sel:[0,1,0]
	v_pk_fma_f16 v27, v69, v58, v27 op_sel:[0,1,0]
	v_pk_fma_f16 v22, v70, v59, v22 op_sel_hi:[1,0,1]
	v_pk_fma_f16 v11, v71, v59, v11 op_sel_hi:[1,0,1]
	v_pk_fma_f16 v9, v72, v59, v9 op_sel_hi:[1,0,1]
	v_pk_fma_f16 v23, v73, v59, v23 op_sel_hi:[1,0,1]
	v_pk_fma_f16 v24, v74, v59, v24 op_sel_hi:[1,0,1]
	v_pk_fma_f16 v25, v75, v59, v25 op_sel_hi:[1,0,1]
	v_pk_fma_f16 v26, v76, v59, v26 op_sel_hi:[1,0,1]
	v_pk_fma_f16 v27, v77, v59, v27 op_sel_hi:[1,0,1]
	v_pk_fma_f16 v22, v78, v59, v22 op_sel:[0,1,0]
	v_pk_fma_f16 v11, v79, v59, v11 op_sel:[0,1,0]
	v_pk_fma_f16 v9, v80, v59, v9 op_sel:[0,1,0]
	v_pk_fma_f16 v23, v81, v59, v23 op_sel:[0,1,0]
	v_pk_fma_f16 v24, v82, v59, v24 op_sel:[0,1,0]
	v_pk_fma_f16 v25, v83, v59, v25 op_sel:[0,1,0]
	v_pk_fma_f16 v26, v84, v59, v26 op_sel:[0,1,0]
	v_pk_fma_f16 v27, v85, v59, v27 op_sel:[0,1,0]
	;; [unrolled: 16-line block ×4, first 2 shown]
	s_waitcnt vmcnt(1)
	ds_write_b128 v46, v[118:121]
	s_waitcnt vmcnt(0)
	ds_write_b128 v47, v[122:125]
	s_waitcnt lgkmcnt(0)
	s_barrier
	ds_read2_b64 v[22:25], v48 offset1:32
	ds_read2_b64 v[26:29], v48 offset0:64 offset1:96
	ds_read_b128 v[58:61], v44 offset:32
	ds_read2_b64 v[62:65], v48 offset0:128 offset1:160
	ds_read2_b64 v[66:69], v48 offset0:192 offset1:224
	ds_read2_b64 v[70:73], v54 offset1:32
	ds_read2_b64 v[74:77], v54 offset0:64 offset1:96
	ds_read2_b64 v[78:81], v54 offset0:128 offset1:160
	ds_read2_b64 v[82:85], v54 offset0:192 offset1:224
	ds_read2_b64 v[86:89], v55 offset1:32
	ds_read2_b64 v[90:93], v55 offset0:64 offset1:96
	;; [unrolled: 4-line block ×3, first 2 shown]
	ds_read2_b64 v[110:113], v56 offset0:128 offset1:160
	ds_read2_b64 v[114:117], v56 offset0:192 offset1:224
	s_waitcnt lgkmcnt(0)
	s_barrier
	global_load_dwordx4 v[118:121], v[20:21], off
	global_load_dwordx4 v[122:125], v[20:21], off offset:512
	v_pk_fma_f16 v20, v22, v58, v30 op_sel_hi:[1,0,1]
	v_pk_fma_f16 v11, v23, v58, v11 op_sel_hi:[1,0,1]
	v_pk_fma_f16 v9, v24, v58, v9 op_sel_hi:[1,0,1]
	v_pk_fma_f16 v21, v25, v58, v31 op_sel_hi:[1,0,1]
	v_pk_fma_f16 v22, v26, v58, v57 op_sel_hi:[1,0,1]
	v_pk_fma_f16 v23, v27, v58, v126 op_sel_hi:[1,0,1]
	v_pk_fma_f16 v24, v28, v58, v127 op_sel_hi:[1,0,1]
	v_pk_fma_f16 v25, v29, v58, v128 op_sel_hi:[1,0,1]
	v_pk_fma_f16 v20, v62, v58, v20 op_sel:[0,1,0]
	v_pk_fma_f16 v11, v63, v58, v11 op_sel:[0,1,0]
	v_pk_fma_f16 v9, v64, v58, v9 op_sel:[0,1,0]
	v_pk_fma_f16 v21, v65, v58, v21 op_sel:[0,1,0]
	v_pk_fma_f16 v22, v66, v58, v22 op_sel:[0,1,0]
	v_pk_fma_f16 v23, v67, v58, v23 op_sel:[0,1,0]
	v_pk_fma_f16 v24, v68, v58, v24 op_sel:[0,1,0]
	v_pk_fma_f16 v25, v69, v58, v25 op_sel:[0,1,0]
	v_pk_fma_f16 v20, v70, v59, v20 op_sel_hi:[1,0,1]
	v_pk_fma_f16 v11, v71, v59, v11 op_sel_hi:[1,0,1]
	v_pk_fma_f16 v9, v72, v59, v9 op_sel_hi:[1,0,1]
	v_pk_fma_f16 v21, v73, v59, v21 op_sel_hi:[1,0,1]
	v_pk_fma_f16 v22, v74, v59, v22 op_sel_hi:[1,0,1]
	v_pk_fma_f16 v23, v75, v59, v23 op_sel_hi:[1,0,1]
	v_pk_fma_f16 v24, v76, v59, v24 op_sel_hi:[1,0,1]
	v_pk_fma_f16 v25, v77, v59, v25 op_sel_hi:[1,0,1]
	v_pk_fma_f16 v20, v78, v59, v20 op_sel:[0,1,0]
	v_pk_fma_f16 v11, v79, v59, v11 op_sel:[0,1,0]
	v_pk_fma_f16 v9, v80, v59, v9 op_sel:[0,1,0]
	v_pk_fma_f16 v21, v81, v59, v21 op_sel:[0,1,0]
	v_pk_fma_f16 v22, v82, v59, v22 op_sel:[0,1,0]
	v_pk_fma_f16 v23, v83, v59, v23 op_sel:[0,1,0]
	v_pk_fma_f16 v24, v84, v59, v24 op_sel:[0,1,0]
	v_pk_fma_f16 v25, v85, v59, v25 op_sel:[0,1,0]
	;; [unrolled: 16-line block ×4, first 2 shown]
	s_waitcnt vmcnt(1)
	ds_write_b128 v46, v[118:121]
	s_waitcnt vmcnt(0)
	ds_write_b128 v47, v[122:125]
	s_waitcnt lgkmcnt(0)
	s_barrier
	ds_read2_b64 v[20:23], v48 offset1:32
	ds_read2_b64 v[24:27], v48 offset0:64 offset1:96
	ds_read_b128 v[28:31], v44 offset:48
	ds_read2_b64 v[58:61], v48 offset0:128 offset1:160
	ds_read2_b64 v[62:65], v48 offset0:192 offset1:224
	ds_read2_b64 v[66:69], v54 offset1:32
	ds_read2_b64 v[70:73], v54 offset0:64 offset1:96
	ds_read2_b64 v[74:77], v54 offset0:128 offset1:160
	ds_read2_b64 v[78:81], v54 offset0:192 offset1:224
	ds_read2_b64 v[82:85], v55 offset1:32
	ds_read2_b64 v[86:89], v55 offset0:64 offset1:96
	;; [unrolled: 4-line block ×3, first 2 shown]
	ds_read2_b64 v[106:109], v56 offset0:128 offset1:160
	ds_read2_b64 v[110:113], v56 offset0:192 offset1:224
	s_waitcnt lgkmcnt(0)
	s_barrier
	global_load_dwordx4 v[114:117], v[18:19], off
	global_load_dwordx4 v[118:121], v[18:19], off offset:512
	v_pk_fma_f16 v18, v20, v28, v57 op_sel_hi:[1,0,1]
	v_pk_fma_f16 v11, v21, v28, v11 op_sel_hi:[1,0,1]
	v_pk_fma_f16 v9, v22, v28, v9 op_sel_hi:[1,0,1]
	v_pk_fma_f16 v19, v23, v28, v126 op_sel_hi:[1,0,1]
	v_pk_fma_f16 v20, v24, v28, v127 op_sel_hi:[1,0,1]
	v_pk_fma_f16 v21, v25, v28, v128 op_sel_hi:[1,0,1]
	v_pk_fma_f16 v22, v26, v28, v129 op_sel_hi:[1,0,1]
	v_pk_fma_f16 v23, v27, v28, v130 op_sel_hi:[1,0,1]
	v_pk_fma_f16 v18, v58, v28, v18 op_sel:[0,1,0]
	v_pk_fma_f16 v11, v59, v28, v11 op_sel:[0,1,0]
	v_pk_fma_f16 v9, v60, v28, v9 op_sel:[0,1,0]
	v_pk_fma_f16 v19, v61, v28, v19 op_sel:[0,1,0]
	v_pk_fma_f16 v20, v62, v28, v20 op_sel:[0,1,0]
	v_pk_fma_f16 v21, v63, v28, v21 op_sel:[0,1,0]
	v_pk_fma_f16 v22, v64, v28, v22 op_sel:[0,1,0]
	v_pk_fma_f16 v23, v65, v28, v23 op_sel:[0,1,0]
	v_pk_fma_f16 v18, v66, v29, v18 op_sel_hi:[1,0,1]
	v_pk_fma_f16 v11, v67, v29, v11 op_sel_hi:[1,0,1]
	v_pk_fma_f16 v9, v68, v29, v9 op_sel_hi:[1,0,1]
	v_pk_fma_f16 v19, v69, v29, v19 op_sel_hi:[1,0,1]
	v_pk_fma_f16 v20, v70, v29, v20 op_sel_hi:[1,0,1]
	v_pk_fma_f16 v21, v71, v29, v21 op_sel_hi:[1,0,1]
	v_pk_fma_f16 v22, v72, v29, v22 op_sel_hi:[1,0,1]
	v_pk_fma_f16 v23, v73, v29, v23 op_sel_hi:[1,0,1]
	v_pk_fma_f16 v18, v74, v29, v18 op_sel:[0,1,0]
	v_pk_fma_f16 v11, v75, v29, v11 op_sel:[0,1,0]
	v_pk_fma_f16 v9, v76, v29, v9 op_sel:[0,1,0]
	v_pk_fma_f16 v19, v77, v29, v19 op_sel:[0,1,0]
	v_pk_fma_f16 v20, v78, v29, v20 op_sel:[0,1,0]
	v_pk_fma_f16 v21, v79, v29, v21 op_sel:[0,1,0]
	v_pk_fma_f16 v22, v80, v29, v22 op_sel:[0,1,0]
	v_pk_fma_f16 v23, v81, v29, v23 op_sel:[0,1,0]
	;; [unrolled: 16-line block ×4, first 2 shown]
	s_waitcnt vmcnt(1)
	ds_write_b128 v46, v[114:117]
	s_waitcnt vmcnt(0)
	ds_write_b128 v47, v[118:121]
	s_waitcnt lgkmcnt(0)
	s_barrier
	ds_read2_b64 v[18:21], v48 offset1:32
	ds_read2_b64 v[22:25], v48 offset0:64 offset1:96
	ds_read_b128 v[26:29], v44 offset:64
	ds_read2_b64 v[58:61], v48 offset0:128 offset1:160
	ds_read2_b64 v[62:65], v48 offset0:192 offset1:224
	ds_read2_b64 v[66:69], v54 offset1:32
	ds_read2_b64 v[70:73], v54 offset0:64 offset1:96
	ds_read2_b64 v[74:77], v54 offset0:128 offset1:160
	ds_read2_b64 v[78:81], v54 offset0:192 offset1:224
	ds_read2_b64 v[82:85], v55 offset1:32
	ds_read2_b64 v[86:89], v55 offset0:64 offset1:96
	;; [unrolled: 4-line block ×3, first 2 shown]
	ds_read2_b64 v[106:109], v56 offset0:128 offset1:160
	ds_read2_b64 v[110:113], v56 offset0:192 offset1:224
	s_waitcnt lgkmcnt(0)
	s_barrier
	global_load_dwordx4 v[114:117], v[16:17], off
	global_load_dwordx4 v[118:121], v[16:17], off offset:512
	v_pk_fma_f16 v16, v18, v26, v30 op_sel_hi:[1,0,1]
	v_pk_fma_f16 v11, v19, v26, v11 op_sel_hi:[1,0,1]
	v_pk_fma_f16 v9, v20, v26, v9 op_sel_hi:[1,0,1]
	v_pk_fma_f16 v17, v21, v26, v57 op_sel_hi:[1,0,1]
	v_pk_fma_f16 v18, v22, v26, v122 op_sel_hi:[1,0,1]
	v_pk_fma_f16 v19, v23, v26, v123 op_sel_hi:[1,0,1]
	v_pk_fma_f16 v20, v24, v26, v124 op_sel_hi:[1,0,1]
	v_pk_fma_f16 v21, v25, v26, v31 op_sel_hi:[1,0,1]
	v_pk_fma_f16 v16, v58, v26, v16 op_sel:[0,1,0]
	v_pk_fma_f16 v11, v59, v26, v11 op_sel:[0,1,0]
	v_pk_fma_f16 v9, v60, v26, v9 op_sel:[0,1,0]
	v_pk_fma_f16 v17, v61, v26, v17 op_sel:[0,1,0]
	v_pk_fma_f16 v18, v62, v26, v18 op_sel:[0,1,0]
	v_pk_fma_f16 v19, v63, v26, v19 op_sel:[0,1,0]
	v_pk_fma_f16 v20, v64, v26, v20 op_sel:[0,1,0]
	v_pk_fma_f16 v21, v65, v26, v21 op_sel:[0,1,0]
	v_pk_fma_f16 v16, v66, v27, v16 op_sel_hi:[1,0,1]
	v_pk_fma_f16 v11, v67, v27, v11 op_sel_hi:[1,0,1]
	v_pk_fma_f16 v9, v68, v27, v9 op_sel_hi:[1,0,1]
	v_pk_fma_f16 v17, v69, v27, v17 op_sel_hi:[1,0,1]
	v_pk_fma_f16 v18, v70, v27, v18 op_sel_hi:[1,0,1]
	v_pk_fma_f16 v19, v71, v27, v19 op_sel_hi:[1,0,1]
	v_pk_fma_f16 v20, v72, v27, v20 op_sel_hi:[1,0,1]
	v_pk_fma_f16 v21, v73, v27, v21 op_sel_hi:[1,0,1]
	v_pk_fma_f16 v16, v74, v27, v16 op_sel:[0,1,0]
	v_pk_fma_f16 v11, v75, v27, v11 op_sel:[0,1,0]
	v_pk_fma_f16 v9, v76, v27, v9 op_sel:[0,1,0]
	v_pk_fma_f16 v17, v77, v27, v17 op_sel:[0,1,0]
	v_pk_fma_f16 v18, v78, v27, v18 op_sel:[0,1,0]
	v_pk_fma_f16 v19, v79, v27, v19 op_sel:[0,1,0]
	v_pk_fma_f16 v20, v80, v27, v20 op_sel:[0,1,0]
	v_pk_fma_f16 v21, v81, v27, v21 op_sel:[0,1,0]
	;; [unrolled: 16-line block ×4, first 2 shown]
	s_waitcnt vmcnt(1)
	ds_write_b128 v46, v[114:117]
	s_waitcnt vmcnt(0)
	ds_write_b128 v47, v[118:121]
	s_waitcnt lgkmcnt(0)
	s_barrier
	ds_read2_b64 v[16:19], v48 offset1:32
	ds_read2_b64 v[20:23], v48 offset0:64 offset1:96
	ds_read_b128 v[24:27], v44 offset:80
	ds_read2_b64 v[28:31], v48 offset0:128 offset1:160
	ds_read2_b64 v[58:61], v48 offset0:192 offset1:224
	ds_read2_b64 v[62:65], v54 offset1:32
	ds_read2_b64 v[66:69], v54 offset0:64 offset1:96
	ds_read2_b64 v[70:73], v54 offset0:128 offset1:160
	ds_read2_b64 v[74:77], v54 offset0:192 offset1:224
	ds_read2_b64 v[78:81], v55 offset1:32
	ds_read2_b64 v[82:85], v55 offset0:64 offset1:96
	;; [unrolled: 4-line block ×3, first 2 shown]
	ds_read2_b64 v[102:105], v56 offset0:128 offset1:160
	ds_read2_b64 v[106:109], v56 offset0:192 offset1:224
	s_waitcnt lgkmcnt(0)
	s_barrier
	global_load_dwordx4 v[110:113], v[14:15], off
	global_load_dwordx4 v[114:117], v[14:15], off offset:512
	v_pk_fma_f16 v14, v16, v24, v57 op_sel_hi:[1,0,1]
	v_pk_fma_f16 v11, v17, v24, v11 op_sel_hi:[1,0,1]
	v_pk_fma_f16 v9, v18, v24, v9 op_sel_hi:[1,0,1]
	v_pk_fma_f16 v15, v19, v24, v122 op_sel_hi:[1,0,1]
	v_pk_fma_f16 v16, v20, v24, v123 op_sel_hi:[1,0,1]
	v_pk_fma_f16 v17, v21, v24, v124 op_sel_hi:[1,0,1]
	v_pk_fma_f16 v18, v22, v24, v125 op_sel_hi:[1,0,1]
	v_pk_fma_f16 v19, v23, v24, v126 op_sel_hi:[1,0,1]
	v_pk_fma_f16 v14, v28, v24, v14 op_sel:[0,1,0]
	v_pk_fma_f16 v11, v29, v24, v11 op_sel:[0,1,0]
	v_pk_fma_f16 v9, v30, v24, v9 op_sel:[0,1,0]
	v_pk_fma_f16 v15, v31, v24, v15 op_sel:[0,1,0]
	v_pk_fma_f16 v16, v58, v24, v16 op_sel:[0,1,0]
	v_pk_fma_f16 v17, v59, v24, v17 op_sel:[0,1,0]
	v_pk_fma_f16 v18, v60, v24, v18 op_sel:[0,1,0]
	v_pk_fma_f16 v19, v61, v24, v19 op_sel:[0,1,0]
	v_pk_fma_f16 v14, v62, v25, v14 op_sel_hi:[1,0,1]
	v_pk_fma_f16 v11, v63, v25, v11 op_sel_hi:[1,0,1]
	v_pk_fma_f16 v9, v64, v25, v9 op_sel_hi:[1,0,1]
	v_pk_fma_f16 v15, v65, v25, v15 op_sel_hi:[1,0,1]
	v_pk_fma_f16 v16, v66, v25, v16 op_sel_hi:[1,0,1]
	v_pk_fma_f16 v17, v67, v25, v17 op_sel_hi:[1,0,1]
	v_pk_fma_f16 v18, v68, v25, v18 op_sel_hi:[1,0,1]
	v_pk_fma_f16 v19, v69, v25, v19 op_sel_hi:[1,0,1]
	v_pk_fma_f16 v14, v70, v25, v14 op_sel:[0,1,0]
	v_pk_fma_f16 v11, v71, v25, v11 op_sel:[0,1,0]
	v_pk_fma_f16 v9, v72, v25, v9 op_sel:[0,1,0]
	v_pk_fma_f16 v15, v73, v25, v15 op_sel:[0,1,0]
	v_pk_fma_f16 v16, v74, v25, v16 op_sel:[0,1,0]
	v_pk_fma_f16 v17, v75, v25, v17 op_sel:[0,1,0]
	v_pk_fma_f16 v18, v76, v25, v18 op_sel:[0,1,0]
	v_pk_fma_f16 v19, v77, v25, v19 op_sel:[0,1,0]
	;; [unrolled: 16-line block ×4, first 2 shown]
	s_waitcnt vmcnt(1)
	ds_write_b128 v46, v[110:113]
	s_waitcnt vmcnt(0)
	ds_write_b128 v47, v[114:117]
	s_waitcnt lgkmcnt(0)
	s_barrier
	ds_read2_b64 v[14:17], v48 offset1:32
	ds_read2_b64 v[18:21], v48 offset0:64 offset1:96
	ds_read_b128 v[22:25], v44 offset:96
	ds_read2_b64 v[26:29], v48 offset0:128 offset1:160
	ds_read2_b64 v[58:61], v48 offset0:192 offset1:224
	ds_read2_b64 v[62:65], v54 offset1:32
	ds_read2_b64 v[66:69], v54 offset0:64 offset1:96
	ds_read2_b64 v[70:73], v54 offset0:128 offset1:160
	ds_read2_b64 v[74:77], v54 offset0:192 offset1:224
	ds_read2_b64 v[78:81], v55 offset1:32
	ds_read2_b64 v[82:85], v55 offset0:64 offset1:96
	;; [unrolled: 4-line block ×3, first 2 shown]
	ds_read2_b64 v[102:105], v56 offset0:128 offset1:160
	ds_read2_b64 v[106:109], v56 offset0:192 offset1:224
	s_waitcnt lgkmcnt(0)
	s_barrier
	global_load_dwordx4 v[110:113], v[12:13], off
	global_load_dwordx4 v[114:117], v[12:13], off offset:512
	v_pk_fma_f16 v12, v14, v22, v30 op_sel_hi:[1,0,1]
	v_pk_fma_f16 v11, v15, v22, v11 op_sel_hi:[1,0,1]
	v_pk_fma_f16 v9, v16, v22, v9 op_sel_hi:[1,0,1]
	v_pk_fma_f16 v13, v17, v22, v31 op_sel_hi:[1,0,1]
	v_pk_fma_f16 v14, v18, v22, v57 op_sel_hi:[1,0,1]
	v_pk_fma_f16 v15, v19, v22, v118 op_sel_hi:[1,0,1]
	v_pk_fma_f16 v16, v20, v22, v119 op_sel_hi:[1,0,1]
	v_pk_fma_f16 v17, v21, v22, v120 op_sel_hi:[1,0,1]
	v_pk_fma_f16 v12, v26, v22, v12 op_sel:[0,1,0]
	v_pk_fma_f16 v11, v27, v22, v11 op_sel:[0,1,0]
	v_pk_fma_f16 v9, v28, v22, v9 op_sel:[0,1,0]
	v_pk_fma_f16 v13, v29, v22, v13 op_sel:[0,1,0]
	v_pk_fma_f16 v14, v58, v22, v14 op_sel:[0,1,0]
	v_pk_fma_f16 v15, v59, v22, v15 op_sel:[0,1,0]
	v_pk_fma_f16 v16, v60, v22, v16 op_sel:[0,1,0]
	v_pk_fma_f16 v17, v61, v22, v17 op_sel:[0,1,0]
	v_pk_fma_f16 v12, v62, v23, v12 op_sel_hi:[1,0,1]
	v_pk_fma_f16 v11, v63, v23, v11 op_sel_hi:[1,0,1]
	v_pk_fma_f16 v9, v64, v23, v9 op_sel_hi:[1,0,1]
	v_pk_fma_f16 v13, v65, v23, v13 op_sel_hi:[1,0,1]
	v_pk_fma_f16 v14, v66, v23, v14 op_sel_hi:[1,0,1]
	v_pk_fma_f16 v15, v67, v23, v15 op_sel_hi:[1,0,1]
	v_pk_fma_f16 v16, v68, v23, v16 op_sel_hi:[1,0,1]
	v_pk_fma_f16 v17, v69, v23, v17 op_sel_hi:[1,0,1]
	v_pk_fma_f16 v12, v70, v23, v12 op_sel:[0,1,0]
	v_pk_fma_f16 v11, v71, v23, v11 op_sel:[0,1,0]
	v_pk_fma_f16 v9, v72, v23, v9 op_sel:[0,1,0]
	v_pk_fma_f16 v13, v73, v23, v13 op_sel:[0,1,0]
	v_pk_fma_f16 v14, v74, v23, v14 op_sel:[0,1,0]
	v_pk_fma_f16 v15, v75, v23, v15 op_sel:[0,1,0]
	v_pk_fma_f16 v16, v76, v23, v16 op_sel:[0,1,0]
	v_pk_fma_f16 v17, v77, v23, v17 op_sel:[0,1,0]
	;; [unrolled: 16-line block ×4, first 2 shown]
	s_waitcnt vmcnt(1)
	ds_write_b128 v46, v[110:113]
	s_waitcnt vmcnt(0)
	ds_write_b128 v47, v[114:117]
	s_waitcnt lgkmcnt(0)
	s_barrier
	ds_read2_b64 v[12:15], v48 offset1:32
	ds_read2_b64 v[16:19], v48 offset0:64 offset1:96
	ds_read_b128 v[20:23], v44 offset:112
	ds_read2_b64 v[24:27], v48 offset0:128 offset1:160
	ds_read2_b64 v[28:31], v48 offset0:192 offset1:224
	ds_read2_b64 v[58:61], v54 offset1:32
	ds_read2_b64 v[62:65], v54 offset0:64 offset1:96
	ds_read2_b64 v[66:69], v54 offset0:128 offset1:160
	ds_read2_b64 v[70:73], v54 offset0:192 offset1:224
	ds_read2_b64 v[74:77], v55 offset1:32
	ds_read2_b64 v[78:81], v55 offset0:64 offset1:96
	;; [unrolled: 4-line block ×3, first 2 shown]
	ds_read2_b64 v[98:101], v56 offset0:128 offset1:160
	ds_read2_b64 v[102:105], v56 offset0:192 offset1:224
	s_waitcnt lgkmcnt(0)
	s_barrier
	s_load_dword s0, s[18:19], 0x4
	v_pk_fma_f16 v12, v12, v20, v57 op_sel_hi:[1,0,1]
	v_pk_fma_f16 v11, v13, v20, v11 op_sel_hi:[1,0,1]
	;; [unrolled: 1-line block ×8, first 2 shown]
	v_pk_fma_f16 v12, v24, v20, v12 op_sel:[0,1,0]
	v_pk_fma_f16 v11, v25, v20, v11 op_sel:[0,1,0]
	;; [unrolled: 1-line block ×8, first 2 shown]
	v_pk_fma_f16 v12, v58, v21, v12 op_sel_hi:[1,0,1]
	v_pk_fma_f16 v11, v59, v21, v11 op_sel_hi:[1,0,1]
	;; [unrolled: 1-line block ×8, first 2 shown]
	v_pk_fma_f16 v12, v66, v21, v12 op_sel:[0,1,0]
	v_pk_fma_f16 v11, v67, v21, v11 op_sel:[0,1,0]
	;; [unrolled: 1-line block ×8, first 2 shown]
	v_pk_fma_f16 v12, v74, v22, v12 op_sel_hi:[1,0,1]
	v_pk_fma_f16 v11, v75, v22, v11 op_sel_hi:[1,0,1]
	;; [unrolled: 1-line block ×8, first 2 shown]
	s_waitcnt lgkmcnt(0)
	s_lshl_b32 s0, s0, 6
	v_pk_fma_f16 v12, v82, v22, v12 op_sel:[0,1,0]
	v_pk_fma_f16 v11, v83, v22, v11 op_sel:[0,1,0]
	v_pk_fma_f16 v9, v84, v22, v9 op_sel:[0,1,0]
	v_pk_fma_f16 v13, v85, v22, v13 op_sel:[0,1,0]
	v_pk_fma_f16 v14, v86, v22, v14 op_sel:[0,1,0]
	v_pk_fma_f16 v15, v87, v22, v15 op_sel:[0,1,0]
	v_pk_fma_f16 v16, v88, v22, v16 op_sel:[0,1,0]
	v_pk_fma_f16 v17, v89, v22, v17 op_sel:[0,1,0]
	s_add_i32 s6, s0, s6
	v_pk_fma_f16 v12, v90, v23, v12 op_sel_hi:[1,0,1]
	v_pk_fma_f16 v11, v91, v23, v11 op_sel_hi:[1,0,1]
	;; [unrolled: 1-line block ×8, first 2 shown]
	s_cmp_lt_i32 s6, s28
	v_pk_fma_f16 v64, v98, v23, v12 op_sel:[0,1,0]
	v_pk_fma_f16 v63, v99, v23, v11 op_sel:[0,1,0]
	;; [unrolled: 1-line block ×8, first 2 shown]
	s_cbranch_scc1 .LBB20_9
.LBB20_10:
	v_cmp_lt_i32_e32 vcc, v39, v34
	v_cndmask_b32_e32 v2, v3, v39, vcc
	v_lshlrev_b32_e32 v2, 2, v2
	ds_bpermute_b32 v2, v2, v10
	v_cmp_lt_i32_e32 vcc, v38, v34
	v_cndmask_b32_e32 v4, v3, v38, vcc
	v_lshlrev_b32_e32 v4, 2, v4
	v_cmp_lt_i32_e32 vcc, v37, v34
	s_waitcnt lgkmcnt(0)
	v_add_f32_e32 v2, v10, v2
	ds_bpermute_b32 v4, v4, v2
	v_cndmask_b32_e32 v5, v3, v37, vcc
	v_lshlrev_b32_e32 v5, 2, v5
	v_cmp_lt_i32_e32 vcc, v36, v34
	s_cmp_eq_u64 s[16:17], 0
	s_waitcnt lgkmcnt(0)
	v_add_f32_e32 v2, v2, v4
	ds_bpermute_b32 v4, v5, v2
	v_cndmask_b32_e32 v5, v3, v36, vcc
	v_lshlrev_b32_e32 v5, 2, v5
	v_cmp_lt_i32_e32 vcc, v35, v34
	v_cndmask_b32_e32 v3, v3, v35, vcc
	s_waitcnt lgkmcnt(0)
	v_add_f32_e32 v2, v2, v4
	ds_bpermute_b32 v4, v5, v2
	v_lshlrev_b32_e32 v3, 2, v3
	s_cselect_b64 s[0:1], -1, 0
	s_cmp_lg_u32 s7, 0
	s_cselect_b64 s[2:3], -1, 0
	s_waitcnt lgkmcnt(0)
	v_add_f32_e32 v2, v2, v4
	ds_bpermute_b32 v3, v3, v2
	s_or_b64 s[0:1], s[2:3], s[0:1]
	s_and_b64 vcc, exec, s[0:1]
	s_waitcnt lgkmcnt(0)
	v_add_f32_e32 v9, v2, v3
	s_cbranch_vccnz .LBB20_13
; %bb.11:
	v_add_u32_e32 v2, s29, v1
	v_ashrrev_i32_e32 v3, 31, v2
	v_lshlrev_b64 v[2:3], 2, v[2:3]
	v_mov_b32_e32 v4, s17
	v_add_co_u32_e32 v2, vcc, s16, v2
	v_addc_co_u32_e32 v3, vcc, v4, v3, vcc
	global_load_dword v3, v[2:3], off
	v_max_f32_e32 v2, v8, v8
	s_mov_b32 s0, 0x3fb8aa3b
	s_mov_b32 s1, 0xc2ce8ed0
	s_waitcnt vmcnt(0)
	v_max_f32_e32 v4, v3, v3
	v_max_f32_e32 v2, v2, v4
	v_sub_f32_e32 v4, v8, v2
	v_sub_f32_e32 v3, v3, v2
	v_mul_f32_e32 v5, 0x3fb8aa3b, v4
	v_mul_f32_e32 v6, 0x3fb8aa3b, v3
	v_fma_f32 v7, v4, s0, -v5
	v_rndne_f32_e32 v8, v5
	v_fma_f32 v10, v3, s0, -v6
	v_rndne_f32_e32 v11, v6
	v_fmac_f32_e32 v7, 0x32a5705f, v4
	v_sub_f32_e32 v5, v5, v8
	v_fmac_f32_e32 v10, 0x32a5705f, v3
	v_sub_f32_e32 v6, v6, v11
	v_add_f32_e32 v5, v5, v7
	v_cvt_i32_f32_e32 v8, v8
	v_add_f32_e32 v6, v6, v10
	v_exp_f32_e32 v5, v5
	v_cvt_i32_f32_e32 v11, v11
	v_exp_f32_e32 v6, v6
	v_cmp_ngt_f32_e32 vcc, s1, v4
	v_ldexp_f32 v5, v5, v8
	s_mov_b32 s0, 0x42b17218
	v_ldexp_f32 v6, v6, v11
	v_cndmask_b32_e32 v5, 0, v5, vcc
	v_cmp_ngt_f32_e32 vcc, s1, v3
	v_mov_b32_e32 v7, 0x7f800000
	v_cndmask_b32_e32 v6, 0, v6, vcc
	v_cmp_nlt_f32_e32 vcc, s0, v4
	v_cndmask_b32_e32 v4, v7, v5, vcc
	v_cvt_f16_f32_e32 v5, v4
	v_cmp_nlt_f32_e32 vcc, s0, v3
	v_cndmask_b32_e32 v3, v7, v6, vcc
	v_fmac_f32_e32 v3, v9, v4
	v_pk_mul_f16 v64, v5, v64 op_sel_hi:[0,1]
	v_pk_mul_f16 v63, v5, v63 op_sel_hi:[0,1]
	;; [unrolled: 1-line block ×8, first 2 shown]
	v_pk_mov_b32 v[8:9], v[2:3], v[2:3] op_sel:[0,1]
	v_cmp_gt_i32_e32 vcc, s26, v32
	s_and_saveexec_b64 s[0:1], vcc
	s_cbranch_execnz .LBB20_14
.LBB20_12:
	s_endpgm
.LBB20_13:
	v_mov_b32_e32 v3, v9
	v_cmp_gt_i32_e32 vcc, s26, v32
	s_and_saveexec_b64 s[0:1], vcc
	s_cbranch_execz .LBB20_12
.LBB20_14:
	v_div_scale_f32 v2, s[0:1], v3, v3, 1.0
	v_rcp_f32_e32 v4, v2
	s_load_dword s2, s[4:5], 0xd4
	s_mul_i32 s33, s33, s26
	v_cvt_f32_f16_sdwa v15, v63 dst_sel:DWORD dst_unused:UNUSED_PAD src0_sel:WORD_1
	v_fma_f32 v5, -v2, v4, 1.0
	v_fmac_f32_e32 v4, v5, v4
	v_div_scale_f32 v5, vcc, 1.0, v3, 1.0
	v_mul_f32_e32 v6, v5, v4
	v_fma_f32 v7, -v2, v6, v5
	v_fmac_f32_e32 v6, v7, v4
	v_fma_f32 v2, -v2, v6, v5
	s_waitcnt lgkmcnt(0)
	s_cmp_lg_u32 s2, 1
	v_div_fmas_f32 v2, v2, v4, v6
	v_div_fixup_f32 v2, v2, v3, 1.0
	s_cselect_b64 s[0:1], -1, 0
	v_cndmask_b32_e64 v10, v2, 1.0, s[0:1]
	v_add_u32_e32 v2, s33, v32
	v_mul_lo_u32 v2, v2, s27
	v_add3_u32 v1, s29, v1, v2
	v_mul_lo_u32 v1, s2, v1
	v_add_u32_e32 v2, s7, v1
	v_cvt_f32_f16_sdwa v7, v64 dst_sel:DWORD dst_unused:UNUSED_PAD src0_sel:WORD_1
	v_cvt_f32_f16_e32 v6, v64
	v_cvt_f32_f16_e32 v14, v63
	v_lshl_add_u32 v12, v2, 9, v33
	v_mov_b32_e32 v13, 0
	v_lshlrev_b64 v[4:5], 2, v[12:13]
	v_mov_b32_e32 v1, s21
	v_add_co_u32_e32 v16, vcc, s20, v4
	v_addc_co_u32_e32 v17, vcc, v1, v5, vcc
	v_pk_mul_f32 v[4:5], v[10:11], v[6:7] op_sel_hi:[0,1]
	v_pk_mul_f32 v[6:7], v[10:11], v[14:15] op_sel_hi:[0,1]
	global_store_dwordx4 v[16:17], v[4:7], off
	v_cvt_f32_f16_sdwa v15, v61 dst_sel:DWORD dst_unused:UNUSED_PAD src0_sel:WORD_1
	v_cvt_f32_f16_sdwa v7, v62 dst_sel:DWORD dst_unused:UNUSED_PAD src0_sel:WORD_1
	v_cvt_f32_f16_e32 v6, v62
	v_cvt_f32_f16_e32 v14, v61
	v_add_u32_e32 v4, 0x80, v12
	v_mov_b32_e32 v5, v13
	v_lshlrev_b64 v[4:5], 2, v[4:5]
	v_add_co_u32_e32 v16, vcc, s20, v4
	v_addc_co_u32_e32 v17, vcc, v1, v5, vcc
	v_pk_mul_f32 v[4:5], v[10:11], v[6:7] op_sel_hi:[0,1]
	v_pk_mul_f32 v[6:7], v[10:11], v[14:15] op_sel_hi:[0,1]
	global_store_dwordx4 v[16:17], v[4:7], off
	v_cvt_f32_f16_sdwa v15, v59 dst_sel:DWORD dst_unused:UNUSED_PAD src0_sel:WORD_1
	v_cvt_f32_f16_sdwa v7, v60 dst_sel:DWORD dst_unused:UNUSED_PAD src0_sel:WORD_1
	v_cvt_f32_f16_e32 v6, v60
	v_cvt_f32_f16_e32 v14, v59
	v_add_u32_e32 v4, 0x100, v12
	v_mov_b32_e32 v5, v13
	v_lshlrev_b64 v[4:5], 2, v[4:5]
	v_add_co_u32_e32 v16, vcc, s20, v4
	v_addc_co_u32_e32 v17, vcc, v1, v5, vcc
	v_pk_mul_f32 v[4:5], v[10:11], v[6:7] op_sel_hi:[0,1]
	v_pk_mul_f32 v[6:7], v[10:11], v[14:15] op_sel_hi:[0,1]
	v_add_u32_e32 v12, 0x180, v12
	global_store_dwordx4 v[16:17], v[4:7], off
	s_nop 0
	v_lshlrev_b64 v[4:5], 2, v[12:13]
	v_cvt_f32_f16_sdwa v7, v58 dst_sel:DWORD dst_unused:UNUSED_PAD src0_sel:WORD_1
	v_cvt_f32_f16_e32 v6, v58
	v_cvt_f32_f16_sdwa v13, v57 dst_sel:DWORD dst_unused:UNUSED_PAD src0_sel:WORD_1
	v_cvt_f32_f16_e32 v12, v57
	v_add_co_u32_e32 v14, vcc, s20, v4
	v_addc_co_u32_e32 v15, vcc, v1, v5, vcc
	v_cmp_eq_u32_e32 vcc, 0, v0
	v_pk_mul_f32 v[4:5], v[10:11], v[6:7] op_sel_hi:[0,1]
	v_pk_mul_f32 v[6:7], v[10:11], v[12:13] op_sel_hi:[0,1]
	s_and_b64 s[0:1], vcc, s[0:1]
	global_store_dwordx4 v[14:15], v[4:7], off
	s_and_b64 exec, exec, s[0:1]
	s_cbranch_execz .LBB20_12
; %bb.15:
	v_ashrrev_i32_e32 v3, 31, v2
	v_lshlrev_b64 v[0:1], 3, v[2:3]
	v_mov_b32_e32 v2, s23
	v_add_co_u32_e32 v0, vcc, s22, v0
	v_addc_co_u32_e32 v1, vcc, v2, v1, vcc
	global_store_dwordx2 v[0:1], v[8:9], off
	s_endpgm
	.section	.rodata,"a",@progbits
	.p2align	6, 0x0
	.amdhsa_kernel _ZL15flash_attn_tileILi512ELi512ELi2ELi4ELb0EEvPKcS1_S1_S1_S1_PKiPfP15HIP_vector_typeIfLj2EEffffjfiS5_IjLj3EEiiiiiiiiiiiliiliiiiil
		.amdhsa_group_segment_fixed_size 18432
		.amdhsa_private_segment_fixed_size 0
		.amdhsa_kernarg_size 464
		.amdhsa_user_sgpr_count 6
		.amdhsa_user_sgpr_private_segment_buffer 1
		.amdhsa_user_sgpr_dispatch_ptr 0
		.amdhsa_user_sgpr_queue_ptr 0
		.amdhsa_user_sgpr_kernarg_segment_ptr 1
		.amdhsa_user_sgpr_dispatch_id 0
		.amdhsa_user_sgpr_flat_scratch_init 0
		.amdhsa_user_sgpr_kernarg_preload_length 0
		.amdhsa_user_sgpr_kernarg_preload_offset 0
		.amdhsa_user_sgpr_private_segment_size 0
		.amdhsa_uses_dynamic_stack 0
		.amdhsa_system_sgpr_private_segment_wavefront_offset 0
		.amdhsa_system_sgpr_workgroup_id_x 1
		.amdhsa_system_sgpr_workgroup_id_y 1
		.amdhsa_system_sgpr_workgroup_id_z 1
		.amdhsa_system_sgpr_workgroup_info 0
		.amdhsa_system_vgpr_workitem_id 1
		.amdhsa_next_free_vgpr 139
		.amdhsa_next_free_sgpr 45
		.amdhsa_accum_offset 140
		.amdhsa_reserve_vcc 1
		.amdhsa_reserve_flat_scratch 0
		.amdhsa_float_round_mode_32 0
		.amdhsa_float_round_mode_16_64 0
		.amdhsa_float_denorm_mode_32 3
		.amdhsa_float_denorm_mode_16_64 3
		.amdhsa_dx10_clamp 1
		.amdhsa_ieee_mode 1
		.amdhsa_fp16_overflow 0
		.amdhsa_tg_split 0
		.amdhsa_exception_fp_ieee_invalid_op 0
		.amdhsa_exception_fp_denorm_src 0
		.amdhsa_exception_fp_ieee_div_zero 0
		.amdhsa_exception_fp_ieee_overflow 0
		.amdhsa_exception_fp_ieee_underflow 0
		.amdhsa_exception_fp_ieee_inexact 0
		.amdhsa_exception_int_div_zero 0
	.end_amdhsa_kernel
	.section	.text._ZL15flash_attn_tileILi512ELi512ELi2ELi4ELb0EEvPKcS1_S1_S1_S1_PKiPfP15HIP_vector_typeIfLj2EEffffjfiS5_IjLj3EEiiiiiiiiiiiliiliiiiil,"axG",@progbits,_ZL15flash_attn_tileILi512ELi512ELi2ELi4ELb0EEvPKcS1_S1_S1_S1_PKiPfP15HIP_vector_typeIfLj2EEffffjfiS5_IjLj3EEiiiiiiiiiiiliiliiiiil,comdat
.Lfunc_end20:
	.size	_ZL15flash_attn_tileILi512ELi512ELi2ELi4ELb0EEvPKcS1_S1_S1_S1_PKiPfP15HIP_vector_typeIfLj2EEffffjfiS5_IjLj3EEiiiiiiiiiiiliiliiiiil, .Lfunc_end20-_ZL15flash_attn_tileILi512ELi512ELi2ELi4ELb0EEvPKcS1_S1_S1_S1_PKiPfP15HIP_vector_typeIfLj2EEffffjfiS5_IjLj3EEiiiiiiiiiiiliiliiiiil
                                        ; -- End function
	.section	.AMDGPU.csdata,"",@progbits
; Kernel info:
; codeLenInByte = 15932
; NumSgprs: 49
; NumVgprs: 139
; NumAgprs: 0
; TotalNumVgprs: 139
; ScratchSize: 0
; MemoryBound: 0
; FloatMode: 240
; IeeeMode: 1
; LDSByteSize: 18432 bytes/workgroup (compile time only)
; SGPRBlocks: 6
; VGPRBlocks: 17
; NumSGPRsForWavesPerEU: 49
; NumVGPRsForWavesPerEU: 139
; AccumOffset: 140
; Occupancy: 3
; WaveLimiterHint : 1
; COMPUTE_PGM_RSRC2:SCRATCH_EN: 0
; COMPUTE_PGM_RSRC2:USER_SGPR: 6
; COMPUTE_PGM_RSRC2:TRAP_HANDLER: 0
; COMPUTE_PGM_RSRC2:TGID_X_EN: 1
; COMPUTE_PGM_RSRC2:TGID_Y_EN: 1
; COMPUTE_PGM_RSRC2:TGID_Z_EN: 1
; COMPUTE_PGM_RSRC2:TIDIG_COMP_CNT: 1
; COMPUTE_PGM_RSRC3_GFX90A:ACCUM_OFFSET: 34
; COMPUTE_PGM_RSRC3_GFX90A:TG_SPLIT: 0
	.section	.text._ZL33flash_attn_stream_k_fixup_uniformILi512ELi2ELi4EEvPfPK15HIP_vector_typeIfLj2EEiiiiiiS1_IjLj3EES5_S5_,"axG",@progbits,_ZL33flash_attn_stream_k_fixup_uniformILi512ELi2ELi4EEvPfPK15HIP_vector_typeIfLj2EEiiiiiiS1_IjLj3EES5_S5_,comdat
	.globl	_ZL33flash_attn_stream_k_fixup_uniformILi512ELi2ELi4EEvPfPK15HIP_vector_typeIfLj2EEiiiiiiS1_IjLj3EES5_S5_ ; -- Begin function _ZL33flash_attn_stream_k_fixup_uniformILi512ELi2ELi4EEvPfPK15HIP_vector_typeIfLj2EEiiiiiiS1_IjLj3EES5_S5_
	.p2align	8
	.type	_ZL33flash_attn_stream_k_fixup_uniformILi512ELi2ELi4EEvPfPK15HIP_vector_typeIfLj2EEiiiiiiS1_IjLj3EES5_S5_,@function
_ZL33flash_attn_stream_k_fixup_uniformILi512ELi2ELi4EEvPfPK15HIP_vector_typeIfLj2EEiiiiiiS1_IjLj3EES5_S5_: ; @_ZL33flash_attn_stream_k_fixup_uniformILi512ELi2ELi4EEvPfPK15HIP_vector_typeIfLj2EEiiiiiiS1_IjLj3EES5_S5_
; %bb.0:
	s_load_dwordx8 s[12:19], s[4:5], 0x1c
	s_load_dwordx2 s[10:11], s[4:5], 0x10
	s_load_dwordx4 s[0:3], s[4:5], 0x3c
	s_waitcnt lgkmcnt(0)
	s_mul_hi_u32 s9, s15, s6
	s_add_i32 s9, s6, s9
	s_lshr_b32 s9, s9, s16
	s_mul_i32 s15, s9, s17
	s_sub_i32 s15, s6, s15
	s_mul_hi_u32 s16, s15, s18
	s_add_i32 s16, s15, s16
	s_lshr_b32 s16, s16, s19
	s_mul_i32 s0, s16, s0
	s_sub_i32 s0, s15, s0
	;; [unrolled: 5-line block ×3, first 2 shown]
	s_lshl_b32 s0, s17, 1
	s_lshl_b32 s15, s1, 2
	s_add_i32 s0, s0, s7
	s_cmp_lt_i32 s0, s10
	s_cselect_b64 s[0:1], -1, 0
	s_add_i32 s2, s15, s8
	s_cmp_lt_i32 s2, s13
	s_cselect_b64 s[2:3], -1, 0
	s_and_b64 s[0:1], s[0:1], s[2:3]
	s_andn2_b64 vcc, exec, s[0:1]
	s_cbranch_vccnz .LBB21_6
; %bb.1:
	s_load_dwordx4 s[0:3], s[4:5], 0x0
	s_mul_i32 s4, s9, s10
	s_add_i32 s4, s4, s7
	s_mul_i32 s4, s4, s11
	s_mul_i32 s16, s16, s13
	s_add_i32 s4, s4, s8
	s_add_i32 s4, s4, s16
	s_mul_i32 s5, s11, s17
	s_add_i32 s4, s4, s15
	s_lshl_b32 s5, s5, 10
	s_lshl_b32 s4, s4, 9
	s_add_i32 s5, s5, s4
	v_or_b32_e32 v2, s5, v0
	v_ashrrev_i32_e32 v3, 31, v2
	v_lshlrev_b64 v[2:3], 2, v[2:3]
	s_waitcnt lgkmcnt(0)
	v_mov_b32_e32 v1, s1
	v_add_co_u32_e32 v2, vcc, s0, v2
	v_addc_co_u32_e32 v3, vcc, v1, v3, vcc
	global_load_dword v8, v[2:3], off
	s_mul_i32 s9, s6, s14
	s_lshl_b32 s4, s7, 2
	s_add_i32 s11, s9, s14
	s_add_i32 s0, s4, s8
	s_lshl_b32 s1, s11, 3
	s_add_i32 s0, s0, s1
	s_add_i32 s0, s0, -8
	s_ashr_i32 s1, s0, 31
	s_lshl_b64 s[0:1], s[0:1], 3
	s_add_u32 s0, s2, s0
	s_addc_u32 s1, s3, s1
	s_load_dword s5, s[0:1], 0x4
	s_add_i32 s10, s11, -2
	s_cmp_lt_i32 s10, s9
	s_cbranch_scc1 .LBB21_4
; %bb.2:
	s_lshl_b32 s16, s12, 5
	s_ashr_i32 s17, s16, 31
	s_lshl_b64 s[16:17], s[16:17], 2
	s_add_u32 s10, s2, s16
	s_addc_u32 s13, s3, s17
	s_add_i32 s6, s6, 1
	s_load_dword s0, s[0:1], 0x0
	s_mul_i32 s1, s14, s6
	s_lshl_b32 s7, s7, 11
	s_lshl_b32 s14, s8, 9
	;; [unrolled: 1-line block ×3, first 2 shown]
	s_add_i32 s7, s14, s7
	s_lshl_b32 s1, s1, 3
	s_add_i32 s7, s7, s6
	s_add_i32 s1, s8, s1
	s_lshl_b32 s6, s12, 3
	s_add_i32 s1, s1, s6
	v_or_b32_e32 v0, s7, v0
	s_add_i32 s1, s1, s4
	s_add_i32 s11, s11, -1
	v_add_u32_e32 v0, 0xffffe000, v0
	s_add_i32 s4, s1, -16
	s_waitcnt lgkmcnt(0)
	v_mov_b32_e32 v7, s5
	v_mov_b32_e32 v6, s0
	;; [unrolled: 1-line block ×3, first 2 shown]
	s_mov_b32 s6, 0x3fb8aa3b
	s_mov_b32 s7, 0xc2ce8ed0
	;; [unrolled: 1-line block ×3, first 2 shown]
	v_mov_b32_e32 v5, 0x7f800000
	s_mov_b32 s12, 0xc1a00000
.LBB21_3:                               ; =>This Inner Loop Header: Depth=1
	v_ashrrev_i32_e32 v1, 31, v0
	v_lshlrev_b64 v[10:11], 2, v[0:1]
	v_add_co_u32_e32 v10, vcc, s10, v10
	v_addc_co_u32_e32 v11, vcc, v4, v11, vcc
	global_load_dword v1, v[10:11], off
	s_ashr_i32 s5, s4, 31
	s_lshl_b64 s[0:1], s[4:5], 3
	s_add_u32 s0, s2, s0
	s_addc_u32 s1, s3, s1
	s_load_dwordx2 s[14:15], s[0:1], 0x0
	s_waitcnt vmcnt(1)
	v_mov_b32_e32 v9, v8
	v_max_f32_e32 v8, v6, v6
	v_mov_b32_e32 v10, v7
	s_add_i32 s11, s11, -1
	s_waitcnt lgkmcnt(0)
	v_max_f32_e64 v7, s14, s14
	v_max_f32_e32 v7, v8, v7
	v_sub_f32_e32 v11, s14, v7
	v_sub_f32_e32 v8, v6, v7
	v_mul_f32_e32 v12, 0x3fb8aa3b, v11
	v_mov_b32_e32 v6, v7
	v_mul_f32_e32 v7, 0x3fb8aa3b, v8
	v_fma_f32 v15, v11, s6, -v12
	v_rndne_f32_e32 v16, v12
	v_fma_f32 v13, v8, s6, -v7
	v_rndne_f32_e32 v14, v7
	v_fmac_f32_e32 v15, 0x32a5705f, v11
	v_sub_f32_e32 v12, v12, v16
	v_fmac_f32_e32 v13, 0x32a5705f, v8
	v_sub_f32_e32 v7, v7, v14
	v_add_f32_e32 v12, v12, v15
	v_cvt_i32_f32_e32 v16, v16
	v_add_f32_e32 v7, v7, v13
	v_exp_f32_e32 v12, v12
	v_cvt_i32_f32_e32 v14, v14
	v_exp_f32_e32 v7, v7
	v_cmp_ngt_f32_e32 vcc, s7, v11
	v_ldexp_f32 v12, v12, v16
	v_cmp_ngt_f32_e64 s[0:1], s7, v8
	v_ldexp_f32 v7, v7, v14
	v_cndmask_b32_e32 v12, 0, v12, vcc
	v_cmp_nlt_f32_e32 vcc, s8, v11
	v_cndmask_b32_e64 v7, 0, v7, s[0:1]
	v_cmp_nlt_f32_e64 s[0:1], s8, v8
	v_cndmask_b32_e32 v12, v5, v12, vcc
	v_cmp_le_f32_e32 vcc, s12, v11
	v_cndmask_b32_e64 v7, v5, v7, s[0:1]
	v_cmp_le_f32_e64 s[0:1], s12, v8
	v_cndmask_b32_e32 v8, 0, v12, vcc
	s_add_i32 s4, s4, -8
	v_cndmask_b32_e64 v11, 0, v7, s[0:1]
	v_mul_f32_e32 v7, s15, v8
	v_add_u32_e32 v0, 0xfffff000, v0
	s_cmp_le_i32 s11, s9
	v_fmac_f32_e32 v7, v10, v11
	s_waitcnt vmcnt(0)
	v_mul_f32_e32 v8, v1, v8
	v_fmac_f32_e32 v8, v9, v11
	s_cbranch_scc0 .LBB21_3
	s_branch .LBB21_5
.LBB21_4:
	s_waitcnt lgkmcnt(0)
	v_mov_b32_e32 v7, s5
.LBB21_5:
	s_waitcnt vmcnt(0)
	v_div_scale_f32 v0, s[0:1], v7, v7, v8
	v_rcp_f32_e32 v1, v0
	v_div_scale_f32 v4, vcc, v8, v7, v8
	v_fma_f32 v5, -v0, v1, 1.0
	v_fmac_f32_e32 v1, v5, v1
	v_mul_f32_e32 v5, v4, v1
	v_fma_f32 v6, -v0, v5, v4
	v_fmac_f32_e32 v5, v6, v1
	v_fma_f32 v0, -v0, v5, v4
	v_div_fmas_f32 v0, v0, v1, v5
	v_div_fixup_f32 v0, v0, v7, v8
	global_store_dword v[2:3], v0, off
.LBB21_6:
	s_endpgm
	.section	.rodata,"a",@progbits
	.p2align	6, 0x0
	.amdhsa_kernel _ZL33flash_attn_stream_k_fixup_uniformILi512ELi2ELi4EEvPfPK15HIP_vector_typeIfLj2EEiiiiiiS1_IjLj3EES5_S5_
		.amdhsa_group_segment_fixed_size 0
		.amdhsa_private_segment_fixed_size 0
		.amdhsa_kernarg_size 76
		.amdhsa_user_sgpr_count 6
		.amdhsa_user_sgpr_private_segment_buffer 1
		.amdhsa_user_sgpr_dispatch_ptr 0
		.amdhsa_user_sgpr_queue_ptr 0
		.amdhsa_user_sgpr_kernarg_segment_ptr 1
		.amdhsa_user_sgpr_dispatch_id 0
		.amdhsa_user_sgpr_flat_scratch_init 0
		.amdhsa_user_sgpr_kernarg_preload_length 0
		.amdhsa_user_sgpr_kernarg_preload_offset 0
		.amdhsa_user_sgpr_private_segment_size 0
		.amdhsa_uses_dynamic_stack 0
		.amdhsa_system_sgpr_private_segment_wavefront_offset 0
		.amdhsa_system_sgpr_workgroup_id_x 1
		.amdhsa_system_sgpr_workgroup_id_y 1
		.amdhsa_system_sgpr_workgroup_id_z 1
		.amdhsa_system_sgpr_workgroup_info 0
		.amdhsa_system_vgpr_workitem_id 0
		.amdhsa_next_free_vgpr 17
		.amdhsa_next_free_sgpr 20
		.amdhsa_accum_offset 20
		.amdhsa_reserve_vcc 1
		.amdhsa_reserve_flat_scratch 0
		.amdhsa_float_round_mode_32 0
		.amdhsa_float_round_mode_16_64 0
		.amdhsa_float_denorm_mode_32 3
		.amdhsa_float_denorm_mode_16_64 3
		.amdhsa_dx10_clamp 1
		.amdhsa_ieee_mode 1
		.amdhsa_fp16_overflow 0
		.amdhsa_tg_split 0
		.amdhsa_exception_fp_ieee_invalid_op 0
		.amdhsa_exception_fp_denorm_src 0
		.amdhsa_exception_fp_ieee_div_zero 0
		.amdhsa_exception_fp_ieee_overflow 0
		.amdhsa_exception_fp_ieee_underflow 0
		.amdhsa_exception_fp_ieee_inexact 0
		.amdhsa_exception_int_div_zero 0
	.end_amdhsa_kernel
	.section	.text._ZL33flash_attn_stream_k_fixup_uniformILi512ELi2ELi4EEvPfPK15HIP_vector_typeIfLj2EEiiiiiiS1_IjLj3EES5_S5_,"axG",@progbits,_ZL33flash_attn_stream_k_fixup_uniformILi512ELi2ELi4EEvPfPK15HIP_vector_typeIfLj2EEiiiiiiS1_IjLj3EES5_S5_,comdat
.Lfunc_end21:
	.size	_ZL33flash_attn_stream_k_fixup_uniformILi512ELi2ELi4EEvPfPK15HIP_vector_typeIfLj2EEiiiiiiS1_IjLj3EES5_S5_, .Lfunc_end21-_ZL33flash_attn_stream_k_fixup_uniformILi512ELi2ELi4EEvPfPK15HIP_vector_typeIfLj2EEiiiiiiS1_IjLj3EES5_S5_
                                        ; -- End function
	.section	.AMDGPU.csdata,"",@progbits
; Kernel info:
; codeLenInByte = 856
; NumSgprs: 24
; NumVgprs: 17
; NumAgprs: 0
; TotalNumVgprs: 17
; ScratchSize: 0
; MemoryBound: 0
; FloatMode: 240
; IeeeMode: 1
; LDSByteSize: 0 bytes/workgroup (compile time only)
; SGPRBlocks: 2
; VGPRBlocks: 2
; NumSGPRsForWavesPerEU: 24
; NumVGPRsForWavesPerEU: 17
; AccumOffset: 20
; Occupancy: 8
; WaveLimiterHint : 0
; COMPUTE_PGM_RSRC2:SCRATCH_EN: 0
; COMPUTE_PGM_RSRC2:USER_SGPR: 6
; COMPUTE_PGM_RSRC2:TRAP_HANDLER: 0
; COMPUTE_PGM_RSRC2:TGID_X_EN: 1
; COMPUTE_PGM_RSRC2:TGID_Y_EN: 1
; COMPUTE_PGM_RSRC2:TGID_Z_EN: 1
; COMPUTE_PGM_RSRC2:TIDIG_COMP_CNT: 0
; COMPUTE_PGM_RSRC3_GFX90A:ACCUM_OFFSET: 4
; COMPUTE_PGM_RSRC3_GFX90A:TG_SPLIT: 0
	.section	.text._ZL33flash_attn_stream_k_fixup_generalILi512ELi2ELi4EEvPfPK15HIP_vector_typeIfLj2EEiiiiS1_IjLj3EES5_S5_S5_,"axG",@progbits,_ZL33flash_attn_stream_k_fixup_generalILi512ELi2ELi4EEvPfPK15HIP_vector_typeIfLj2EEiiiiS1_IjLj3EES5_S5_S5_,comdat
	.globl	_ZL33flash_attn_stream_k_fixup_generalILi512ELi2ELi4EEvPfPK15HIP_vector_typeIfLj2EEiiiiS1_IjLj3EES5_S5_S5_ ; -- Begin function _ZL33flash_attn_stream_k_fixup_generalILi512ELi2ELi4EEvPfPK15HIP_vector_typeIfLj2EEiiiiS1_IjLj3EES5_S5_S5_
	.p2align	8
	.type	_ZL33flash_attn_stream_k_fixup_generalILi512ELi2ELi4EEvPfPK15HIP_vector_typeIfLj2EEiiiiS1_IjLj3EES5_S5_S5_,@function
_ZL33flash_attn_stream_k_fixup_generalILi512ELi2ELi4EEvPfPK15HIP_vector_typeIfLj2EEiiiiS1_IjLj3EES5_S5_S5_: ; @_ZL33flash_attn_stream_k_fixup_generalILi512ELi2ELi4EEvPfPK15HIP_vector_typeIfLj2EEiiiiS1_IjLj3EES5_S5_S5_
; %bb.0:
	s_load_dwordx4 s[12:15], s[4:5], 0x10
	s_load_dword s9, s[4:5], 0x50
	s_mov_b32 s2, 0
	s_waitcnt lgkmcnt(0)
	s_mul_hi_i32 s3, s15, s6
	s_cmp_lg_u64 s[2:3], 0
	s_mul_i32 s2, s15, s6
	s_cbranch_scc0 .LBB22_21
; %bb.1:
	v_cvt_f32_u32_e32 v1, s9
	v_cvt_f32_ubyte0_e32 v2, 0
	s_sub_u32 s10, 0, s9
	s_subb_u32 s11, 0, 0
	v_madmk_f32 v1, v2, 0x4f800000, v1
	v_rcp_f32_e32 v1, v1
	v_mul_f32_e32 v1, 0x5f7ffffc, v1
	v_mul_f32_e32 v2, 0x2f800000, v1
	v_trunc_f32_e32 v2, v2
	v_madmk_f32 v1, v2, 0xcf800000, v1
	v_cvt_u32_f32_e32 v2, v2
	v_cvt_u32_f32_e32 v1, v1
	v_readfirstlane_b32 s16, v2
	v_readfirstlane_b32 s17, v1
	s_mul_i32 s18, s10, s16
	s_mul_hi_u32 s20, s10, s17
	s_mul_i32 s19, s11, s17
	s_add_i32 s18, s20, s18
	s_add_i32 s18, s18, s19
	s_mul_i32 s21, s10, s17
	s_mul_hi_u32 s19, s17, s18
	s_mul_i32 s20, s17, s18
	s_mul_hi_u32 s17, s17, s21
	s_add_u32 s17, s17, s20
	s_addc_u32 s19, 0, s19
	s_mul_hi_u32 s22, s16, s21
	s_mul_i32 s21, s16, s21
	s_add_u32 s17, s17, s21
	s_mul_hi_u32 s20, s16, s18
	s_addc_u32 s17, s19, s22
	s_addc_u32 s19, s20, 0
	s_mul_i32 s18, s16, s18
	s_add_u32 s17, s17, s18
	s_addc_u32 s18, 0, s19
	v_add_co_u32_e32 v1, vcc, s17, v1
	s_cmp_lg_u64 vcc, 0
	s_addc_u32 s16, s16, s18
	v_readfirstlane_b32 s18, v1
	s_mul_i32 s17, s10, s16
	s_mul_hi_u32 s19, s10, s18
	s_add_i32 s17, s19, s17
	s_mul_i32 s11, s11, s18
	s_add_i32 s17, s17, s11
	s_mul_i32 s10, s10, s18
	s_mul_hi_u32 s19, s16, s10
	s_mul_i32 s20, s16, s10
	s_mul_i32 s22, s18, s17
	s_mul_hi_u32 s10, s18, s10
	s_mul_hi_u32 s21, s18, s17
	s_add_u32 s10, s10, s22
	s_addc_u32 s18, 0, s21
	s_add_u32 s10, s10, s20
	s_mul_hi_u32 s11, s16, s17
	s_addc_u32 s10, s18, s19
	s_addc_u32 s11, s11, 0
	s_mul_i32 s17, s16, s17
	s_add_u32 s10, s10, s17
	s_addc_u32 s11, 0, s11
	v_add_co_u32_e32 v1, vcc, s10, v1
	s_cmp_lg_u64 vcc, 0
	s_addc_u32 s18, s16, s11
	s_ashr_i32 s10, s3, 31
	s_add_u32 s16, s2, s10
	s_mov_b32 s11, s10
	s_addc_u32 s17, s3, s10
	s_xor_b64 s[16:17], s[16:17], s[10:11]
	v_readfirstlane_b32 s20, v1
	s_mul_i32 s19, s16, s18
	s_mul_hi_u32 s21, s16, s20
	s_mul_hi_u32 s3, s16, s18
	s_add_u32 s19, s21, s19
	s_addc_u32 s3, 0, s3
	s_mul_hi_u32 s22, s17, s20
	s_mul_i32 s20, s17, s20
	s_add_u32 s19, s19, s20
	s_mul_hi_u32 s21, s17, s18
	s_addc_u32 s3, s3, s22
	s_addc_u32 s19, s21, 0
	s_mul_i32 s18, s17, s18
	s_add_u32 s3, s3, s18
	s_addc_u32 s18, 0, s19
	s_add_u32 s19, s3, 1
	s_addc_u32 s20, s18, 0
	s_add_u32 s21, s3, 2
	s_mul_i32 s23, s9, s18
	s_mul_hi_u32 s24, s9, s3
	s_addc_u32 s22, s18, 0
	s_add_i32 s24, s24, s23
	s_mul_i32 s23, s9, s3
	v_mov_b32_e32 v1, s23
	v_sub_co_u32_e32 v1, vcc, s16, v1
	s_cmp_lg_u64 vcc, 0
	s_subb_u32 s16, s17, s24
	v_subrev_co_u32_e32 v2, vcc, s9, v1
	s_cmp_lg_u64 vcc, 0
	s_subb_u32 s17, s16, 0
	v_readfirstlane_b32 s23, v2
	s_cmp_ge_u32 s23, s9
	s_cselect_b32 s23, -1, 0
	s_cmp_eq_u32 s17, 0
	s_cselect_b32 s17, s23, -1
	s_cmp_lg_u32 s17, 0
	s_cselect_b32 s17, s22, s20
	v_readfirstlane_b32 s20, v1
	s_cselect_b32 s19, s21, s19
	s_cmp_ge_u32 s20, s9
	s_cselect_b32 s20, -1, 0
	s_cmp_eq_u32 s16, 0
	s_cselect_b32 s16, s20, -1
	s_cmp_lg_u32 s16, 0
	s_cselect_b32 s17, s17, s18
	s_cselect_b32 s16, s19, s3
	s_xor_b64 s[16:17], s[16:17], s[10:11]
	s_sub_u32 s20, s16, s10
	s_load_dwordx4 s[16:19], s[4:5], 0x44
	s_cbranch_execnz .LBB22_3
.LBB22_2:
	v_cvt_f32_u32_e32 v1, s9
	s_sub_i32 s0, 0, s9
	v_rcp_iflag_f32_e32 v1, v1
	v_mul_f32_e32 v1, 0x4f7ffffe, v1
	v_cvt_u32_f32_e32 v1, v1
	v_readfirstlane_b32 s1, v1
	s_mul_i32 s0, s0, s1
	s_mul_hi_u32 s0, s1, s0
	s_add_i32 s1, s1, s0
	s_mul_hi_u32 s0, s2, s1
	s_mul_i32 s3, s0, s9
	s_sub_i32 s2, s2, s3
	s_add_i32 s1, s0, 1
	s_sub_i32 s3, s2, s9
	s_cmp_ge_u32 s2, s9
	s_cselect_b32 s0, s1, s0
	s_cselect_b32 s2, s3, s2
	s_add_i32 s1, s0, 1
	s_cmp_ge_u32 s2, s9
	s_cselect_b32 s20, s1, s0
.LBB22_3:
	s_add_i32 s0, s6, 1
	s_mul_hi_i32 s3, s15, s0
	s_mov_b32 s2, 0
	s_cmp_lg_u64 s[2:3], 0
	s_mul_i32 s2, s15, s0
	s_cbranch_scc0 .LBB22_22
; %bb.4:
	v_cvt_f32_u32_e32 v1, s9
	v_cvt_f32_ubyte0_e32 v2, 0
	s_sub_u32 s10, 0, s9
	s_subb_u32 s11, 0, 0
	v_madmk_f32 v1, v2, 0x4f800000, v1
	v_rcp_f32_e32 v1, v1
	v_mul_f32_e32 v1, 0x5f7ffffc, v1
	v_mul_f32_e32 v2, 0x2f800000, v1
	v_trunc_f32_e32 v2, v2
	v_madmk_f32 v1, v2, 0xcf800000, v1
	v_cvt_u32_f32_e32 v2, v2
	v_cvt_u32_f32_e32 v1, v1
	s_waitcnt lgkmcnt(0)
	v_readfirstlane_b32 s19, v2
	v_readfirstlane_b32 s21, v1
	s_mul_i32 s22, s10, s19
	s_mul_hi_u32 s24, s10, s21
	s_mul_i32 s23, s11, s21
	s_add_i32 s22, s24, s22
	s_add_i32 s22, s22, s23
	s_mul_i32 s25, s10, s21
	s_mul_hi_u32 s23, s21, s22
	s_mul_i32 s24, s21, s22
	s_mul_hi_u32 s21, s21, s25
	s_add_u32 s21, s21, s24
	s_addc_u32 s23, 0, s23
	s_mul_hi_u32 s26, s19, s25
	s_mul_i32 s25, s19, s25
	s_add_u32 s21, s21, s25
	s_mul_hi_u32 s24, s19, s22
	s_addc_u32 s21, s23, s26
	s_addc_u32 s23, s24, 0
	s_mul_i32 s22, s19, s22
	s_add_u32 s21, s21, s22
	s_addc_u32 s22, 0, s23
	v_add_co_u32_e32 v1, vcc, s21, v1
	s_cmp_lg_u64 vcc, 0
	s_addc_u32 s19, s19, s22
	v_readfirstlane_b32 s22, v1
	s_mul_i32 s21, s10, s19
	s_mul_hi_u32 s23, s10, s22
	s_add_i32 s21, s23, s21
	s_mul_i32 s11, s11, s22
	s_add_i32 s21, s21, s11
	s_mul_i32 s10, s10, s22
	s_mul_hi_u32 s23, s19, s10
	s_mul_i32 s24, s19, s10
	s_mul_i32 s26, s22, s21
	s_mul_hi_u32 s10, s22, s10
	s_mul_hi_u32 s25, s22, s21
	s_add_u32 s10, s10, s26
	s_addc_u32 s22, 0, s25
	s_add_u32 s10, s10, s24
	s_mul_hi_u32 s11, s19, s21
	s_addc_u32 s10, s22, s23
	s_addc_u32 s11, s11, 0
	s_mul_i32 s21, s19, s21
	s_add_u32 s10, s10, s21
	s_addc_u32 s11, 0, s11
	v_add_co_u32_e32 v1, vcc, s10, v1
	s_cmp_lg_u64 vcc, 0
	s_addc_u32 s19, s19, s11
	s_ashr_i32 s10, s3, 31
	s_add_u32 s22, s2, s10
	s_mov_b32 s11, s10
	s_addc_u32 s23, s3, s10
	s_xor_b64 s[22:23], s[22:23], s[10:11]
	v_readfirstlane_b32 s21, v1
	s_mul_i32 s11, s22, s19
	s_mul_hi_u32 s24, s22, s21
	s_mul_hi_u32 s3, s22, s19
	s_add_u32 s11, s24, s11
	s_addc_u32 s3, 0, s3
	s_mul_hi_u32 s25, s23, s21
	s_mul_i32 s21, s23, s21
	s_add_u32 s11, s11, s21
	s_mul_hi_u32 s24, s23, s19
	s_addc_u32 s3, s3, s25
	s_addc_u32 s11, s24, 0
	s_mul_i32 s19, s23, s19
	s_add_u32 s3, s3, s19
	s_addc_u32 s11, 0, s11
	s_mul_i32 s11, s9, s11
	s_mul_hi_u32 s24, s9, s3
	s_add_i32 s24, s24, s11
	s_mul_i32 s11, s9, s3
	v_mov_b32_e32 v1, s11
	s_add_u32 s19, s3, 1
	s_add_u32 s21, s3, 2
	v_sub_co_u32_e32 v1, vcc, s22, v1
	s_cmp_lg_u64 vcc, 0
	s_subb_u32 s11, s23, s24
	v_subrev_co_u32_e32 v2, vcc, s9, v1
	s_cmp_lg_u64 vcc, 0
	s_subb_u32 s22, s11, 0
	v_cmp_le_u32_e32 vcc, s9, v2
	s_cmp_eq_u32 s22, 0
	v_cndmask_b32_e64 v2, 0, -1, vcc
	s_cselect_b64 vcc, -1, 0
	v_cndmask_b32_e32 v2, -1, v2, vcc
	v_mov_b32_e32 v3, s19
	v_mov_b32_e32 v4, s21
	v_cmp_ne_u32_e32 vcc, 0, v2
	v_cndmask_b32_e32 v2, v3, v4, vcc
	v_cmp_le_u32_e32 vcc, s9, v1
	s_cmp_eq_u32 s11, 0
	v_cndmask_b32_e64 v1, 0, -1, vcc
	s_cselect_b64 vcc, -1, 0
	v_cndmask_b32_e32 v1, -1, v1, vcc
	v_mov_b32_e32 v3, s3
	v_cmp_ne_u32_e32 vcc, 0, v1
	v_cndmask_b32_e32 v1, v3, v2, vcc
	v_xor_b32_e32 v1, s10, v1
	v_subrev_co_u32_e32 v2, vcc, s10, v1
	s_cbranch_execnz .LBB22_6
.LBB22_5:
	v_cvt_f32_u32_e32 v1, s9
	s_sub_i32 s0, 0, s9
	s_mov_b32 s1, 0
	v_rcp_iflag_f32_e32 v1, v1
	v_mul_f32_e32 v1, 0x4f7ffffe, v1
	v_cvt_u32_f32_e32 v1, v1
	v_readfirstlane_b32 s3, v1
	s_mul_i32 s0, s0, s3
	s_mul_hi_u32 s0, s3, s0
	s_add_i32 s3, s3, s0
	s_mul_hi_u32 s0, s2, s3
	s_mul_i32 s10, s0, s9
	s_sub_i32 s2, s2, s10
	s_add_i32 s3, s0, 1
	s_sub_i32 s10, s2, s9
	s_cmp_ge_u32 s2, s9
	s_cselect_b32 s0, s3, s0
	s_cselect_b32 s2, s10, s2
	s_add_i32 s3, s0, 1
	s_cmp_ge_u32 s2, s9
	s_cselect_b32 s0, s3, s0
	v_pk_mov_b32 v[2:3], s[0:1], s[0:1] op_sel:[0,1]
.LBB22_6:
	s_waitcnt lgkmcnt(0)
	s_mul_hi_u32 s0, s20, s16
	s_add_i32 s0, s0, s20
	v_mul_hi_u32 v1, v2, s16
	s_lshr_b32 s19, s0, s17
	v_add_u32_e32 v1, v1, v2
	s_mul_i32 s0, s19, s18
	v_lshrrev_b32_e32 v1, s17, v1
	s_cmp_eq_u32 s0, s20
	v_cmp_eq_u32_e64 s[0:1], s19, v1
	v_mul_lo_u32 v1, v1, s18
	v_cmp_eq_u32_e32 vcc, s20, v2
	s_cselect_b64 s[10:11], -1, 0
	v_cmp_ne_u32_e64 s[2:3], v1, v2
	s_and_b64 s[0:1], s[0:1], s[2:3]
	s_or_b64 s[2:3], vcc, s[10:11]
	s_or_b64 s[0:1], s[2:3], s[0:1]
	s_and_b64 vcc, exec, s[0:1]
	s_cbranch_vccnz .LBB22_24
; %bb.7:
	s_load_dwordx8 s[24:31], s[4:5], 0x20
	s_load_dword s0, s[4:5], 0x40
	s_mov_b32 s10, 0
	s_waitcnt lgkmcnt(0)
	s_mul_hi_u32 s1, s20, s24
	s_add_i32 s1, s1, s20
	s_lshr_b32 s11, s1, s25
	s_mul_i32 s1, s11, s26
	s_sub_i32 s1, s20, s1
	s_mul_hi_u32 s2, s1, s27
	s_add_i32 s2, s1, s2
	s_lshr_b32 s24, s2, s28
	s_mul_i32 s2, s24, s29
	s_sub_i32 s1, s1, s2
	;; [unrolled: 5-line block ×3, first 2 shown]
	s_mul_hi_u32 s1, s0, s16
	s_add_i32 s0, s0, s1
	s_lshr_b32 s26, s0, s17
	s_lshl_b32 s0, s26, 1
	s_lshl_b32 s25, s2, 2
	s_add_i32 s0, s0, s7
	s_cmp_lt_i32 s0, s12
	s_cselect_b64 s[0:1], -1, 0
	s_add_i32 s2, s25, s8
	s_cmp_lt_i32 s2, s14
	s_cselect_b64 s[2:3], -1, 0
	s_and_b64 s[0:1], s[0:1], s[2:3]
	s_andn2_b64 vcc, exec, s[0:1]
	s_cbranch_vccnz .LBB22_24
; %bb.8:
	s_load_dwordx4 s[0:3], s[4:5], 0x0
	s_lshl_b32 s21, s7, 2
	s_lshl_b32 s4, s9, 5
	s_mov_b32 s5, s10
	s_add_i32 s21, s21, s8
	s_lshl_b64 s[4:5], s[4:5], 2
	s_waitcnt lgkmcnt(0)
	s_add_u32 s22, s2, s4
	s_mul_i32 s4, s11, s12
	s_addc_u32 s23, s3, s5
	s_add_i32 s4, s4, s7
	s_mul_i32 s4, s4, s13
	s_mul_i32 s24, s24, s14
	s_add_i32 s4, s4, s8
	s_add_i32 s4, s4, s24
	s_mul_i32 s5, s13, s26
	s_add_i32 s4, s4, s25
	s_lshl_b32 s5, s5, 10
	s_lshl_b32 s4, s4, 9
	s_add_i32 s5, s5, s4
	v_or_b32_e32 v2, s5, v0
	v_ashrrev_i32_e32 v3, 31, v2
	v_lshlrev_b64 v[2:3], 2, v[2:3]
	v_mov_b32_e32 v1, s1
	v_add_co_u32_e32 v2, vcc, s0, v2
	v_addc_co_u32_e32 v3, vcc, v1, v3, vcc
	global_load_dword v5, v[2:3], off
	v_lshl_or_b32 v4, s21, 9, v0
	v_cvt_f32_u32_e32 v0, s9
	v_cvt_f32_ubyte0_e32 v1, 0
	s_lshl_b32 s0, s6, 3
	s_add_i32 s0, s21, s0
	v_mac_f32_e32 v0, 0x4f800000, v1
	v_rcp_f32_e32 v0, v0
	v_cvt_f32_u32_e32 v1, s9
	s_ashr_i32 s1, s0, 31
	s_lshl_b64 s[0:1], s[0:1], 3
	v_mul_f32_e32 v0, 0x5f7ffffc, v0
	v_rcp_iflag_f32_e32 v1, v1
	s_add_u32 s0, s2, s0
	v_mul_f32_e32 v9, 0x2f800000, v0
	s_addc_u32 s1, s3, s1
	v_trunc_f32_e32 v10, v9
	s_load_dwordx2 s[0:1], s[0:1], 0x0
	v_mac_f32_e32 v0, 0xcf800000, v10
	v_cvt_u32_f32_e32 v9, v0
	v_mul_f32_e32 v0, 0x4f7ffffe, v1
	v_cvt_u32_f32_e32 v10, v10
	v_cvt_u32_f32_e32 v11, v0
	s_add_i32 s8, s6, -1
	s_waitcnt lgkmcnt(0)
	v_mov_b32_e32 v6, s1
	v_mov_b32_e32 v7, s0
	;; [unrolled: 1-line block ×3, first 2 shown]
	s_mov_b32 s6, 0x3fb8aa3b
	s_mov_b32 s7, 0xc2ce8ed0
	;; [unrolled: 1-line block ×4, first 2 shown]
	v_mov_b32_e32 v12, 0x7f800000
	s_mul_hi_i32 s11, s8, s15
	s_cmp_lg_u64 s[10:11], 0
	s_mul_i32 s4, s8, s15
	s_cbranch_scc0 .LBB22_15
.LBB22_9:
	s_sub_u32 s0, 0, s9
	v_readfirstlane_b32 s5, v9
	v_readfirstlane_b32 s24, v10
	s_subb_u32 s1, 0, 0
	s_mul_hi_u32 s20, s0, s5
	s_mul_i32 s25, s0, s24
	s_mul_i32 s14, s1, s5
	s_add_i32 s20, s20, s25
	s_add_i32 s20, s20, s14
	s_mul_i32 s26, s0, s5
	s_mul_hi_u32 s14, s5, s20
	s_mul_i32 s25, s5, s20
	s_mul_hi_u32 s5, s5, s26
	s_add_u32 s5, s5, s25
	s_addc_u32 s14, 0, s14
	s_mul_hi_u32 s27, s24, s26
	s_mul_i32 s26, s24, s26
	s_add_u32 s5, s5, s26
	s_mul_hi_u32 s25, s24, s20
	s_addc_u32 s5, s14, s27
	s_addc_u32 s14, s25, 0
	s_mul_i32 s20, s24, s20
	s_add_u32 s5, s5, s20
	s_addc_u32 s14, 0, s14
	v_add_co_u32_e32 v0, vcc, s5, v9
	s_cmp_lg_u64 vcc, 0
	s_addc_u32 s5, s24, s14
	v_readfirstlane_b32 s20, v0
	s_mul_i32 s14, s0, s5
	s_mul_hi_u32 s24, s0, s20
	s_add_i32 s14, s24, s14
	s_mul_i32 s1, s1, s20
	s_add_i32 s14, s14, s1
	s_mul_i32 s0, s0, s20
	s_mul_hi_u32 s24, s5, s0
	s_mul_i32 s25, s5, s0
	s_mul_i32 s27, s20, s14
	s_mul_hi_u32 s0, s20, s0
	s_mul_hi_u32 s26, s20, s14
	s_add_u32 s0, s0, s27
	s_addc_u32 s20, 0, s26
	s_add_u32 s0, s0, s25
	s_mul_hi_u32 s1, s5, s14
	s_addc_u32 s0, s20, s24
	s_addc_u32 s1, s1, 0
	s_mul_i32 s14, s5, s14
	s_add_u32 s0, s0, s14
	s_addc_u32 s1, 0, s1
	v_add_co_u32_e32 v0, vcc, s0, v0
	s_cmp_lg_u64 vcc, 0
	s_addc_u32 s5, s5, s1
	s_ashr_i32 s0, s11, 31
	s_add_u32 s24, s4, s0
	s_mov_b32 s1, s0
	s_addc_u32 s25, s11, s0
	s_xor_b64 s[24:25], s[24:25], s[0:1]
	v_readfirstlane_b32 s14, v0
	s_mul_i32 s11, s24, s5
	s_mul_hi_u32 s20, s24, s14
	s_mul_hi_u32 s1, s24, s5
	s_add_u32 s11, s20, s11
	s_addc_u32 s1, 0, s1
	s_mul_hi_u32 s26, s25, s14
	s_mul_i32 s14, s25, s14
	s_add_u32 s11, s11, s14
	s_mul_hi_u32 s20, s25, s5
	s_addc_u32 s1, s1, s26
	s_addc_u32 s11, s20, 0
	s_mul_i32 s5, s25, s5
	s_add_u32 s1, s1, s5
	s_addc_u32 s5, 0, s11
	s_mul_i32 s5, s9, s5
	s_mul_hi_u32 s20, s9, s1
	s_add_i32 s20, s20, s5
	s_mul_i32 s5, s9, s1
	v_mov_b32_e32 v0, s5
	s_add_u32 s11, s1, 1
	s_add_u32 s14, s1, 2
	v_sub_co_u32_e32 v0, vcc, s24, v0
	s_cmp_lg_u64 vcc, 0
	s_subb_u32 s5, s25, s20
	v_subrev_co_u32_e32 v1, vcc, s9, v0
	s_cmp_lg_u64 vcc, 0
	s_subb_u32 s20, s5, 0
	v_cmp_le_u32_e32 vcc, s9, v1
	s_cmp_eq_u32 s20, 0
	v_cndmask_b32_e64 v1, 0, -1, vcc
	s_cselect_b64 vcc, -1, 0
	v_cndmask_b32_e32 v1, -1, v1, vcc
	v_mov_b32_e32 v13, s11
	v_mov_b32_e32 v14, s14
	v_cmp_ne_u32_e32 vcc, 0, v1
	v_cndmask_b32_e32 v1, v13, v14, vcc
	v_cmp_le_u32_e32 vcc, s9, v0
	s_cmp_eq_u32 s5, 0
	v_cndmask_b32_e64 v0, 0, -1, vcc
	s_cselect_b64 vcc, -1, 0
	v_cndmask_b32_e32 v0, -1, v0, vcc
	v_mov_b32_e32 v13, s1
	v_cmp_ne_u32_e32 vcc, 0, v0
	v_cndmask_b32_e32 v0, v13, v1, vcc
	v_xor_b32_e32 v0, s0, v0
	v_subrev_co_u32_e32 v0, vcc, s0, v0
	s_cbranch_execnz .LBB22_11
.LBB22_10:
	s_sub_i32 s0, 0, s9
	v_mul_lo_u32 v0, s0, v11
	v_mul_hi_u32 v0, v11, v0
	v_add_u32_e32 v0, v11, v0
	v_mul_hi_u32 v0, s4, v0
	v_mul_lo_u32 v13, v0, s9
	v_sub_u32_e32 v13, s4, v13
	v_add_u32_e32 v1, 1, v0
	v_subrev_u32_e32 v14, s9, v13
	v_cmp_le_u32_e32 vcc, s9, v13
	v_cndmask_b32_e32 v13, v13, v14, vcc
	v_cndmask_b32_e32 v0, v0, v1, vcc
	v_add_u32_e32 v1, 1, v0
	v_cmp_le_u32_e32 vcc, s9, v13
	v_cndmask_b32_e32 v0, v0, v1, vcc
.LBB22_11:
	v_cmp_ne_u32_e32 vcc, v8, v0
	s_cbranch_vccz .LBB22_14
; %bb.12:
	s_add_i32 s0, s8, s9
	s_lshl_b32 s0, s0, 3
	v_mul_hi_u32 v1, v0, s16
	s_add_i32 s0, s0, s21
	s_mov_b32 s1, s10
	v_add_u32_e32 v1, v1, v0
	s_lshl_b64 s[0:1], s[0:1], 3
	v_lshrrev_b32_e32 v1, s17, v1
	s_add_u32 s4, s2, s0
	v_mul_lo_u32 v13, v1, s18
	s_addc_u32 s5, s3, s1
	v_cmp_eq_u32_e32 vcc, v13, v0
	v_cmp_gt_u32_e64 s[0:1], s19, v1
	s_or_b64 s[0:1], s[0:1], vcc
	s_and_b64 vcc, exec, s[0:1]
	s_cbranch_vccnz .LBB22_16
; %bb.13:
	s_add_i32 s11, s8, -1
	s_mov_b64 s[0:1], 0
	s_branch .LBB22_17
.LBB22_14:
                                        ; implicit-def: $sgpr0_sgpr1
                                        ; implicit-def: $vgpr14
                                        ; implicit-def: $vgpr1
                                        ; implicit-def: $vgpr13
                                        ; implicit-def: $sgpr11
                                        ; implicit-def: $vgpr0
	s_branch .LBB22_18
.LBB22_15:
                                        ; implicit-def: $vgpr0_vgpr1
	s_branch .LBB22_10
.LBB22_16:
	s_mov_b64 s[0:1], -1
	s_mov_b32 s11, s8
	v_mov_b32_e32 v0, v8
.LBB22_17:
	v_lshl_add_u32 v14, s8, 12, v4
	v_ashrrev_i32_e32 v15, 31, v14
	v_lshlrev_b64 v[14:15], 2, v[14:15]
	v_mov_b32_e32 v1, s23
	v_add_co_u32_e32 v14, vcc, s22, v14
	v_addc_co_u32_e32 v15, vcc, v1, v15, vcc
	global_load_dword v14, v[14:15], off
	s_load_dwordx2 s[4:5], s[4:5], 0x0
	v_max_f32_e32 v1, v7, v7
	s_waitcnt lgkmcnt(0)
	v_max_f32_e64 v13, s4, s4
	v_max_f32_e32 v1, v1, v13
	v_sub_f32_e32 v13, v7, v1
	v_sub_f32_e32 v15, s4, v1
	v_mul_f32_e32 v16, 0x3fb8aa3b, v13
	v_mul_f32_e32 v17, 0x3fb8aa3b, v15
	v_fma_f32 v18, v13, s6, -v16
	v_rndne_f32_e32 v19, v16
	v_fma_f32 v20, v15, s6, -v17
	v_rndne_f32_e32 v21, v17
	v_fmac_f32_e32 v18, 0x32a5705f, v13
	v_sub_f32_e32 v16, v16, v19
	v_fmac_f32_e32 v20, 0x32a5705f, v15
	v_sub_f32_e32 v17, v17, v21
	v_add_f32_e32 v16, v16, v18
	v_cvt_i32_f32_e32 v19, v19
	v_add_f32_e32 v17, v17, v20
	v_exp_f32_e32 v16, v16
	v_cvt_i32_f32_e32 v21, v21
	v_exp_f32_e32 v17, v17
	v_cmp_ngt_f32_e32 vcc, s7, v13
	v_ldexp_f32 v16, v16, v19
	v_cndmask_b32_e32 v16, 0, v16, vcc
	v_ldexp_f32 v17, v17, v21
	v_cmp_ngt_f32_e32 vcc, s7, v15
	v_cndmask_b32_e32 v17, 0, v17, vcc
	v_cmp_nlt_f32_e32 vcc, s12, v13
	v_cndmask_b32_e32 v16, v12, v16, vcc
	v_cmp_nlt_f32_e32 vcc, s12, v15
	v_cndmask_b32_e32 v17, v12, v17, vcc
	v_cmp_le_f32_e32 vcc, s13, v13
	v_cndmask_b32_e32 v16, 0, v16, vcc
	v_cmp_le_f32_e32 vcc, s13, v15
	v_cndmask_b32_e32 v15, 0, v17, vcc
	v_mul_f32_e32 v13, s5, v15
	v_fmac_f32_e32 v13, v6, v16
	s_waitcnt vmcnt(0)
	v_mul_f32_e32 v14, v14, v15
	v_fmac_f32_e32 v14, v5, v16
	s_cbranch_execnz .LBB22_19
.LBB22_18:
	s_add_i32 s11, s8, -1
	s_mov_b64 s[0:1], 0
	v_mov_b32_e32 v0, v8
	v_mov_b32_e32 v13, v6
	;; [unrolled: 1-line block ×3, first 2 shown]
	s_waitcnt vmcnt(0)
	v_mov_b32_e32 v14, v5
.LBB22_19:
	s_andn2_b64 vcc, exec, s[0:1]
	s_cbranch_vccz .LBB22_23
; %bb.20:
	v_mov_b32_e32 v8, v0
	s_mov_b32 s8, s11
	v_mov_b32_e32 v6, v13
	v_mov_b32_e32 v7, v1
	s_waitcnt vmcnt(0)
	v_mov_b32_e32 v5, v14
	s_mul_hi_i32 s11, s8, s15
	s_cmp_lg_u64 s[10:11], 0
	s_mul_i32 s4, s8, s15
	s_cbranch_scc1 .LBB22_9
	s_branch .LBB22_15
.LBB22_21:
                                        ; implicit-def: $sgpr20_sgpr21
	s_load_dwordx4 s[16:19], s[4:5], 0x44
	s_branch .LBB22_2
.LBB22_22:
                                        ; implicit-def: $vgpr2_vgpr3
	s_branch .LBB22_5
.LBB22_23:
	v_div_scale_f32 v0, s[0:1], v13, v13, v14
	v_rcp_f32_e32 v1, v0
	v_div_scale_f32 v4, vcc, v14, v13, v14
	s_waitcnt vmcnt(0)
	v_fma_f32 v5, -v0, v1, 1.0
	v_fmac_f32_e32 v1, v5, v1
	v_mul_f32_e32 v5, v4, v1
	v_fma_f32 v6, -v0, v5, v4
	v_fmac_f32_e32 v5, v6, v1
	v_fma_f32 v0, -v0, v5, v4
	v_div_fmas_f32 v0, v0, v1, v5
	v_div_fixup_f32 v0, v0, v13, v14
	global_store_dword v[2:3], v0, off
.LBB22_24:
	s_endpgm
	.section	.rodata,"a",@progbits
	.p2align	6, 0x0
	.amdhsa_kernel _ZL33flash_attn_stream_k_fixup_generalILi512ELi2ELi4EEvPfPK15HIP_vector_typeIfLj2EEiiiiS1_IjLj3EES5_S5_S5_
		.amdhsa_group_segment_fixed_size 0
		.amdhsa_private_segment_fixed_size 0
		.amdhsa_kernarg_size 336
		.amdhsa_user_sgpr_count 6
		.amdhsa_user_sgpr_private_segment_buffer 1
		.amdhsa_user_sgpr_dispatch_ptr 0
		.amdhsa_user_sgpr_queue_ptr 0
		.amdhsa_user_sgpr_kernarg_segment_ptr 1
		.amdhsa_user_sgpr_dispatch_id 0
		.amdhsa_user_sgpr_flat_scratch_init 0
		.amdhsa_user_sgpr_kernarg_preload_length 0
		.amdhsa_user_sgpr_kernarg_preload_offset 0
		.amdhsa_user_sgpr_private_segment_size 0
		.amdhsa_uses_dynamic_stack 0
		.amdhsa_system_sgpr_private_segment_wavefront_offset 0
		.amdhsa_system_sgpr_workgroup_id_x 1
		.amdhsa_system_sgpr_workgroup_id_y 1
		.amdhsa_system_sgpr_workgroup_id_z 1
		.amdhsa_system_sgpr_workgroup_info 0
		.amdhsa_system_vgpr_workitem_id 0
		.amdhsa_next_free_vgpr 22
		.amdhsa_next_free_sgpr 32
		.amdhsa_accum_offset 24
		.amdhsa_reserve_vcc 1
		.amdhsa_reserve_flat_scratch 0
		.amdhsa_float_round_mode_32 0
		.amdhsa_float_round_mode_16_64 0
		.amdhsa_float_denorm_mode_32 3
		.amdhsa_float_denorm_mode_16_64 3
		.amdhsa_dx10_clamp 1
		.amdhsa_ieee_mode 1
		.amdhsa_fp16_overflow 0
		.amdhsa_tg_split 0
		.amdhsa_exception_fp_ieee_invalid_op 0
		.amdhsa_exception_fp_denorm_src 0
		.amdhsa_exception_fp_ieee_div_zero 0
		.amdhsa_exception_fp_ieee_overflow 0
		.amdhsa_exception_fp_ieee_underflow 0
		.amdhsa_exception_fp_ieee_inexact 0
		.amdhsa_exception_int_div_zero 0
	.end_amdhsa_kernel
	.section	.text._ZL33flash_attn_stream_k_fixup_generalILi512ELi2ELi4EEvPfPK15HIP_vector_typeIfLj2EEiiiiS1_IjLj3EES5_S5_S5_,"axG",@progbits,_ZL33flash_attn_stream_k_fixup_generalILi512ELi2ELi4EEvPfPK15HIP_vector_typeIfLj2EEiiiiS1_IjLj3EES5_S5_S5_,comdat
.Lfunc_end22:
	.size	_ZL33flash_attn_stream_k_fixup_generalILi512ELi2ELi4EEvPfPK15HIP_vector_typeIfLj2EEiiiiS1_IjLj3EES5_S5_S5_, .Lfunc_end22-_ZL33flash_attn_stream_k_fixup_generalILi512ELi2ELi4EEvPfPK15HIP_vector_typeIfLj2EEiiiiS1_IjLj3EES5_S5_S5_
                                        ; -- End function
	.section	.AMDGPU.csdata,"",@progbits
; Kernel info:
; codeLenInByte = 2824
; NumSgprs: 36
; NumVgprs: 22
; NumAgprs: 0
; TotalNumVgprs: 22
; ScratchSize: 0
; MemoryBound: 0
; FloatMode: 240
; IeeeMode: 1
; LDSByteSize: 0 bytes/workgroup (compile time only)
; SGPRBlocks: 4
; VGPRBlocks: 2
; NumSGPRsForWavesPerEU: 36
; NumVGPRsForWavesPerEU: 22
; AccumOffset: 24
; Occupancy: 8
; WaveLimiterHint : 0
; COMPUTE_PGM_RSRC2:SCRATCH_EN: 0
; COMPUTE_PGM_RSRC2:USER_SGPR: 6
; COMPUTE_PGM_RSRC2:TRAP_HANDLER: 0
; COMPUTE_PGM_RSRC2:TGID_X_EN: 1
; COMPUTE_PGM_RSRC2:TGID_Y_EN: 1
; COMPUTE_PGM_RSRC2:TGID_Z_EN: 1
; COMPUTE_PGM_RSRC2:TIDIG_COMP_CNT: 0
; COMPUTE_PGM_RSRC3_GFX90A:ACCUM_OFFSET: 5
; COMPUTE_PGM_RSRC3_GFX90A:TG_SPLIT: 0
	.section	.text._ZL15flash_attn_tileILi512ELi512ELi1ELi4ELb0EEvPKcS1_S1_S1_S1_PKiPfP15HIP_vector_typeIfLj2EEffffjfiS5_IjLj3EEiiiiiiiiiiiliiliiiiil,"axG",@progbits,_ZL15flash_attn_tileILi512ELi512ELi1ELi4ELb0EEvPKcS1_S1_S1_S1_PKiPfP15HIP_vector_typeIfLj2EEffffjfiS5_IjLj3EEiiiiiiiiiiiliiliiiiil,comdat
	.globl	_ZL15flash_attn_tileILi512ELi512ELi1ELi4ELb0EEvPKcS1_S1_S1_S1_PKiPfP15HIP_vector_typeIfLj2EEffffjfiS5_IjLj3EEiiiiiiiiiiiliiliiiiil ; -- Begin function _ZL15flash_attn_tileILi512ELi512ELi1ELi4ELb0EEvPKcS1_S1_S1_S1_PKiPfP15HIP_vector_typeIfLj2EEffffjfiS5_IjLj3EEiiiiiiiiiiiliiliiiiil
	.p2align	8
	.type	_ZL15flash_attn_tileILi512ELi512ELi1ELi4ELb0EEvPKcS1_S1_S1_S1_PKiPfP15HIP_vector_typeIfLj2EEffffjfiS5_IjLj3EEiiiiiiiiiiiliiliiiiil,@function
_ZL15flash_attn_tileILi512ELi512ELi1ELi4ELb0EEvPKcS1_S1_S1_S1_PKiPfP15HIP_vector_typeIfLj2EEffffjfiS5_IjLj3EEiiiiiiiiiiiliiliiiiil: ; @_ZL15flash_attn_tileILi512ELi512ELi1ELi4ELb0EEvPKcS1_S1_S1_S1_PKiPfP15HIP_vector_typeIfLj2EEffffjfiS5_IjLj3EEiiiiiiiiiiiliiliiiiil
; %bb.0:
	s_load_dwordx4 s[24:27], s[4:5], 0x5c
	s_load_dwordx2 s[28:29], s[4:5], 0x80
	s_load_dwordx2 s[34:35], s[4:5], 0xb8
	s_mov_b64 s[30:31], 0
	s_waitcnt lgkmcnt(0)
	s_ashr_i32 s0, s27, 31
	s_lshr_b32 s0, s0, 30
	s_add_i32 s0, s27, s0
	s_ashr_i32 s0, s0, 2
	v_cvt_f32_u32_e32 v1, s0
	s_sub_i32 s1, 0, s0
	v_rcp_iflag_f32_e32 v1, v1
	v_mul_f32_e32 v1, 0x4f7ffffe, v1
	v_cvt_u32_f32_e32 v1, v1
	v_readfirstlane_b32 s2, v1
	s_mul_i32 s1, s1, s2
	s_mul_hi_u32 s1, s2, s1
	s_add_i32 s2, s2, s1
	s_mul_hi_u32 s1, s8, s2
	s_mul_i32 s2, s1, s0
	s_sub_i32 s2, s8, s2
	s_add_i32 s3, s1, 1
	s_sub_i32 s9, s2, s0
	s_cmp_ge_u32 s2, s0
	s_cselect_b32 s1, s3, s1
	s_cselect_b32 s2, s9, s2
	s_add_i32 s3, s1, 1
	s_cmp_ge_u32 s2, s0
	s_cselect_b32 s33, s3, s1
	s_abs_i32 s0, s29
	v_cvt_f32_u32_e32 v1, s0
	s_lshl_b32 s1, s8, 2
	s_mul_i32 s8, s33, s27
	s_xor_b32 s2, s27, s29
	v_rcp_iflag_f32_e32 v1, v1
	s_sub_i32 s9, 0, s0
	s_sub_i32 s29, s1, s8
	s_abs_i32 s3, s27
	v_mul_f32_e32 v1, 0x4f7ffffe, v1
	v_cvt_u32_f32_e32 v1, v1
	s_ashr_i32 s2, s2, 31
	v_readfirstlane_b32 s1, v1
	s_mul_i32 s9, s9, s1
	s_mul_hi_u32 s8, s1, s9
	s_add_i32 s1, s1, s8
	s_mul_hi_u32 s1, s3, s1
	s_mul_i32 s8, s1, s0
	s_sub_i32 s3, s3, s8
	s_add_i32 s9, s1, 1
	s_sub_i32 s8, s3, s0
	s_cmp_ge_u32 s3, s0
	s_cselect_b32 s1, s9, s1
	s_cselect_b32 s3, s8, s3
	s_add_i32 s8, s1, 1
	s_cmp_ge_u32 s3, s0
	s_cselect_b32 s0, s8, s1
	s_xor_b32 s0, s0, s2
	s_sub_i32 s37, s0, s2
	s_abs_i32 s36, s37
	v_cvt_f32_u32_e32 v1, s36
	s_load_dwordx16 s[8:23], s[4:5], 0x0
	v_rcp_iflag_f32_e32 v1, v1
	s_waitcnt lgkmcnt(0)
	s_cmp_eq_u64 s[14:15], 0
	v_mul_f32_e32 v1, 0x4f7ffffe, v1
	v_cvt_u32_f32_e32 v1, v1
	v_readfirstlane_b32 s2, v1
	s_cbranch_scc1 .LBB23_2
; %bb.1:
	s_abs_i32 s3, s34
	v_cvt_f32_u32_e32 v1, s3
	s_sub_i32 s34, 0, s3
	s_abs_i32 s31, s33
	s_ashr_i32 s30, s33, 31
	v_rcp_iflag_f32_e32 v1, v1
	s_load_dwordx2 s[0:1], s[4:5], 0xc8
	v_mul_f32_e32 v1, 0x4f7ffffe, v1
	v_cvt_u32_f32_e32 v1, v1
	v_readfirstlane_b32 s38, v1
	s_mul_i32 s34, s34, s38
	s_mul_hi_u32 s34, s38, s34
	s_add_i32 s38, s38, s34
	s_mul_hi_u32 s34, s31, s38
	s_mul_i32 s34, s34, s3
	s_sub_i32 s31, s31, s34
	s_sub_i32 s34, s31, s3
	s_cmp_ge_u32 s31, s3
	s_cselect_b32 s31, s34, s31
	s_sub_i32 s34, s31, s3
	s_cmp_ge_u32 s31, s3
	s_cselect_b32 s3, s34, s31
	s_xor_b32 s3, s3, s30
	s_sub_i32 s3, s3, s30
	s_ashr_i32 s30, s3, 31
	s_waitcnt lgkmcnt(0)
	s_mul_i32 s1, s3, s1
	s_mul_hi_u32 s31, s3, s0
	s_add_i32 s1, s31, s1
	s_mul_i32 s30, s30, s0
	s_add_i32 s1, s1, s30
	s_mul_i32 s3, s3, s0
	s_add_u32 s30, s14, s3
	s_addc_u32 s31, s15, s1
.LBB23_2:
	s_load_dwordx4 s[40:43], s[4:5], 0x70
	v_bfe_u32 v2, v0, 10, 10
	v_lshrrev_b32_e32 v1, 2, v2
	v_add_u32_e32 v17, s6, v1
	v_mul_hi_u32 v1, s24, v17
	s_waitcnt lgkmcnt(0)
	s_mul_i32 s0, s33, s42
	s_ashr_i32 s3, s0, 31
	s_mul_i32 s1, s29, s41
	s_add_u32 s0, s8, s0
	s_addc_u32 s3, s9, s3
	s_ashr_i32 s8, s1, 31
	s_add_u32 s9, s0, s1
	s_addc_u32 s3, s3, s8
	s_ashr_i32 s8, s41, 31
	v_mov_b32_e32 v3, s41
	v_add_u32_e32 v1, v17, v1
	v_and_b32_e32 v76, 3, v2
	v_alignbit_b32 v3, s8, v3, 2
	v_lshrrev_b32_e32 v1, s25, v1
	v_mad_u64_u32 v[4:5], s[0:1], v3, v76, 0
	v_mul_lo_u32 v1, v1, s26
	v_mov_b32_e32 v6, v5
	s_lshr_b32 s0, s8, 2
	v_sub_u32_e32 v3, v17, v1
	s_ashr_i32 s8, s40, 31
	v_mov_b32_e32 v1, s40
	v_mad_u64_u32 v[6:7], s[0:1], s0, v76, v[6:7]
	v_alignbit_b32 v1, s8, v1, 2
	v_mov_b32_e32 v5, v6
	v_mad_u64_u32 v[6:7], s[0:1], v1, v3, 0
	v_mov_b32_e32 v8, v7
	s_lshr_b32 s0, s8, 2
	v_mad_u64_u32 v[8:9], s[0:1], s0, v3, v[8:9]
	v_and_b32_e32 v16, 0x3ff, v0
	v_lshlrev_b64 v[0:1], 2, v[4:5]
	v_mov_b32_e32 v7, v8
	v_mov_b32_e32 v4, s3
	v_add_co_u32_e32 v5, vcc, s9, v0
	v_addc_co_u32_e32 v4, vcc, v4, v1, vcc
	v_lshlrev_b64 v[0:1], 2, v[6:7]
	v_add_co_u32_e32 v0, vcc, v5, v0
	v_addc_co_u32_e32 v1, vcc, v4, v1, vcc
	v_lshlrev_b32_e32 v4, 4, v16
	v_add_co_u32_e32 v0, vcc, v0, v4
	v_addc_co_u32_e32 v1, vcc, 0, v1, vcc
	global_load_dwordx4 v[6:9], v[0:1], off
	global_load_dwordx4 v[10:13], v[0:1], off offset:512
	global_load_dwordx4 v[18:21], v[0:1], off offset:1024
	;; [unrolled: 1-line block ×3, first 2 shown]
	s_load_dword s0, s[4:5], 0x40
	v_lshlrev_b32_e32 v4, 10, v2
	s_mov_b32 s1, 0
	v_lshl_or_b32 v0, v16, 3, v4
	v_add_u32_e32 v5, 0x2000, v0
	s_cmp_eq_u64 s[18:19], 0
	s_waitcnt vmcnt(3) lgkmcnt(0)
	v_pk_mul_f32 v[0:1], v[6:7], s[0:1] op_sel_hi:[1,0]
	v_pk_mul_f32 v[6:7], v[8:9], s[0:1] op_sel_hi:[1,0]
	s_waitcnt vmcnt(2)
	v_pk_mul_f32 v[8:9], v[10:11], s[0:1] op_sel_hi:[1,0]
	v_pk_mul_f32 v[10:11], v[12:13], s[0:1] op_sel_hi:[1,0]
	s_waitcnt vmcnt(1)
	v_pk_mul_f32 v[12:13], v[18:19], s[0:1] op_sel_hi:[1,0]
	v_pk_mul_f32 v[14:15], v[20:21], s[0:1] op_sel_hi:[1,0]
	s_waitcnt vmcnt(0)
	v_pk_mul_f32 v[18:19], v[22:23], s[0:1] op_sel_hi:[1,0]
	v_pk_mul_f32 v[20:21], v[24:25], s[0:1] op_sel_hi:[1,0]
	v_cvt_f16_f32_e32 v22, v1
	v_cvt_f16_f32_e32 v0, v0
	;; [unrolled: 1-line block ×16, first 2 shown]
	v_pack_b32_f16 v1, v6, v1
	v_pack_b32_f16 v0, v0, v22
	;; [unrolled: 1-line block ×8, first 2 shown]
	ds_write2_b64 v5, v[0:1], v[6:7] offset0:128 offset1:160
	ds_write2_b64 v5, v[8:9], v[10:11] offset0:192 offset1:224
	s_waitcnt lgkmcnt(0)
	s_barrier
	s_cbranch_scc1 .LBB23_4
; %bb.3:
	s_load_dword s0, s[4:5], 0xd0
	s_waitcnt lgkmcnt(0)
	s_mul_i32 s0, s0, s33
	s_add_i32 s0, s0, s6
	s_lshl_b64 s[0:1], s[0:1], 2
	s_add_u32 s0, s18, s0
	s_addc_u32 s1, s19, s1
	s_load_dword s28, s[0:1], 0x0
.LBB23_4:
	s_lshl_b32 s6, s7, 6
	v_lshlrev_b32_e32 v77, 2, v16
	s_waitcnt lgkmcnt(0)
	s_cmp_lt_i32 s6, s28
	v_mbcnt_lo_u32_b32 v5, -1, 0
	s_cbranch_scc1 .LBB23_6
; %bb.5:
	v_mbcnt_hi_u32_b32 v19, -1, v5
	v_and_b32_e32 v0, 0x60, v19
	s_mov_b32 s3, 0
	v_add_u32_e32 v78, 32, v0
	v_xor_b32_e32 v83, 16, v19
	v_xor_b32_e32 v82, 8, v19
	v_xor_b32_e32 v81, 4, v19
	v_xor_b32_e32 v80, 2, v19
	v_xor_b32_e32 v79, 1, v19
	s_mov_b64 s[0:1], 0
	s_mov_b32 s8, 0xfeffffff
	s_branch .LBB23_7
.LBB23_6:
	s_mov_b64 s[0:1], -1
                                        ; implicit-def: $sgpr8
                                        ; implicit-def: $sgpr3
                                        ; implicit-def: $vgpr19
                                        ; implicit-def: $vgpr78
                                        ; implicit-def: $vgpr83
                                        ; implicit-def: $vgpr82
                                        ; implicit-def: $vgpr81
                                        ; implicit-def: $vgpr80
                                        ; implicit-def: $vgpr79
.LBB23_7:
	s_andn2_b64 vcc, exec, s[0:1]
	v_mov_b32_e32 v0, s8
	v_mov_b32_e32 v1, s3
	;; [unrolled: 1-line block ×10, first 2 shown]
	s_cbranch_vccnz .LBB23_10
; %bb.8:
	s_sub_i32 s0, 0, s36
	s_mul_i32 s0, s0, s2
	s_mul_hi_u32 s0, s2, s0
	s_add_i32 s14, s2, s0
	s_load_dwordx2 s[8:9], s[4:5], 0x8c
	s_load_dwordx4 s[0:3], s[4:5], 0x98
	s_abs_i32 s18, s29
	s_mul_hi_u32 s19, s18, s14
	s_ashr_i32 s34, s29, 31
	s_waitcnt lgkmcnt(0)
	s_ashr_i32 s15, s8, 2
	s_ashr_i32 s8, s33, 31
	s_mul_i32 s1, s33, s1
	s_mul_hi_u32 s38, s33, s0
	s_add_i32 s1, s38, s1
	s_mul_i32 s38, s8, s0
	s_ashr_i32 s37, s37, 31
	s_ashr_i32 s14, s2, 2
	;; [unrolled: 1-line block ×3, first 2 shown]
	s_add_i32 s1, s1, s38
	s_mul_i32 s0, s33, s0
	s_add_u32 s0, s10, s0
	s_addc_u32 s1, s11, s1
	s_mul_i32 s11, s19, s36
	s_sub_i32 s11, s18, s11
	s_xor_b32 s10, s34, s37
	s_add_i32 s18, s19, 1
	s_sub_i32 s34, s11, s36
	s_cmp_ge_u32 s11, s36
	s_cselect_b32 s18, s18, s19
	s_cselect_b32 s11, s34, s11
	s_add_i32 s19, s18, 1
	s_cmp_ge_u32 s11, s36
	s_cselect_b32 s11, s19, s18
	s_load_dwordx2 s[24:25], s[4:5], 0xa8
	s_xor_b32 s11, s11, s10
	s_sub_i32 s10, s11, s10
	s_mul_i32 s9, s10, s9
	s_ashr_i32 s11, s9, 31
	s_add_u32 s18, s0, s9
	s_addc_u32 s19, s1, s11
	s_waitcnt lgkmcnt(0)
	s_mul_i32 s0, s33, s25
	s_mul_hi_u32 s1, s33, s24
	s_add_i32 s0, s1, s0
	s_mul_i32 s8, s8, s24
	s_add_i32 s0, s0, s8
	s_mul_i32 s1, s33, s24
	s_add_u32 s1, s12, s1
	s_mul_i32 s10, s10, s3
	s_addc_u32 s0, s13, s0
	s_ashr_i32 s3, s10, 31
	s_add_u32 s12, s1, s10
	v_lshrrev_b32_e32 v0, 3, v16
	v_and_b32_e32 v6, 28, v77
	s_addc_u32 s13, s0, s3
	v_lshl_add_u32 v0, v2, 2, v0
	v_lshlrev_b32_e32 v1, 2, v6
	s_movk_i32 s0, 0x90
	v_mad_u32_u24 v84, v0, s0, v1
	v_mul_lo_u32 v8, s15, v0
	s_lshl_b32 s0, s15, 4
	v_add_u32_e32 v10, s0, v8
	v_add_u32_e32 v12, s0, v10
	v_add_u32_e32 v14, s0, v12
	v_mad_u64_u32 v[18:19], s[0:1], v3, s35, v[16:17]
	v_mov_b32_e32 v0, 0x3400
	v_lshl_add_u32 v90, v2, 7, v0
	v_mul_lo_u32 v2, s14, v2
	s_and_b32 s0, s2, -4
	v_add_u32_e32 v30, s0, v2
	v_mbcnt_hi_u32_b32 v19, -1, v5
	v_ashrrev_i32_e32 v9, 31, v8
	v_ashrrev_i32_e32 v11, 31, v10
	;; [unrolled: 1-line block ×4, first 2 shown]
	v_lshl_add_u32 v92, v77, 2, v4
	v_ashrrev_i32_e32 v3, 31, v2
	v_ashrrev_i32_e32 v31, 31, v30
	v_lshlrev_b32_e32 v96, 3, v16
	s_add_u32 s10, s4, 0xd0
	v_and_b32_e32 v1, 0x60, v19
	v_mov_b32_e32 v104, 0
	v_add_u32_e32 v85, 0x900, v84
	v_add_u32_e32 v86, 0x1200, v84
	;; [unrolled: 1-line block ×4, first 2 shown]
	v_mul_u32_u24_e32 v89, 0x90, v16
	v_lshl_add_u32 v91, v16, 1, v90
	v_add_u32_e32 v93, 0x200, v92
	v_add_u32_e32 v94, 0x1000, v92
	v_add_u32_e32 v95, 0x1200, v92
	s_addc_u32 s11, s5, 0
	v_mov_b32_e32 v0, 0xfeffffff
	v_lshlrev_b64 v[20:21], 2, v[8:9]
	v_lshlrev_b32_e32 v97, 2, v6
	v_lshlrev_b64 v[22:23], 2, v[10:11]
	v_lshlrev_b64 v[24:25], 2, v[12:13]
	;; [unrolled: 1-line block ×3, first 2 shown]
	v_mov_b32_e32 v98, s31
	v_add_u32_e32 v78, 32, v1
	v_xor_b32_e32 v83, 16, v19
	v_xor_b32_e32 v82, 8, v19
	;; [unrolled: 1-line block ×5, first 2 shown]
	s_mov_b32 s24, 0x3fb8aa3b
	s_mov_b32 s25, 0xc2ce8ed0
	;; [unrolled: 1-line block ×3, first 2 shown]
	v_mov_b32_e32 v99, 0x7f800000
	v_lshlrev_b64 v[28:29], 2, v[2:3]
	v_lshlrev_b32_e32 v100, 2, v77
	v_lshlrev_b64 v[30:31], 2, v[30:31]
	v_add_u32_e32 v101, 0x800, v96
	v_add_u32_e32 v102, 0x1000, v96
	;; [unrolled: 1-line block ×3, first 2 shown]
	v_mov_b32_e32 v105, 0
	v_mov_b32_e32 v106, 0
	;; [unrolled: 1-line block ×8, first 2 shown]
.LBB23_9:                               ; =>This Inner Loop Header: Depth=1
	v_cmp_lt_i32_e32 vcc, v83, v78
	v_cndmask_b32_e32 v2, v19, v83, vcc
	v_cmp_lt_i32_e32 vcc, v82, v78
	v_mov_b32_e32 v112, v0
	v_add_u32_e32 v0, s6, v18
	v_cndmask_b32_e32 v3, v19, v82, vcc
	v_cmp_lt_i32_e32 vcc, v81, v78
	s_mul_hi_i32 s1, s6, s15
	s_mul_i32 s0, s6, s15
	v_cndmask_b32_e32 v4, v19, v81, vcc
	v_cmp_lt_i32_e32 vcc, v80, v78
	v_mov_b32_e32 v113, v1
	v_ashrrev_i32_e32 v1, 31, v0
	v_cndmask_b32_e32 v5, v19, v80, vcc
	v_cmp_lt_i32_e32 vcc, v79, v78
	s_lshl_b64 s[0:1], s[0:1], 2
	v_lshlrev_b64 v[0:1], 1, v[0:1]
	v_cndmask_b32_e32 v6, v19, v79, vcc
	s_add_u32 s8, s18, s0
	v_add_co_u32_e32 v34, vcc, s30, v0
	s_mul_hi_i32 s3, s6, s14
	s_mul_i32 s2, s6, s14
	s_addc_u32 s9, s19, s1
	v_addc_co_u32_e32 v35, vcc, v98, v1, vcc
	v_lshlrev_b32_e32 v118, 2, v2
	v_lshlrev_b32_e32 v117, 2, v3
	;; [unrolled: 1-line block ×5, first 2 shown]
	s_lshl_b64 s[34:35], s[2:3], 2
	v_mov_b32_e32 v0, s9
	v_mov_b32_e32 v1, s9
	v_add_co_u32_e32 v2, vcc, s8, v22
	v_mov_b32_e32 v3, s9
	v_add_co_u32_e64 v4, s[0:1], s8, v24
	v_mov_b32_e32 v5, s9
	v_add_co_u32_e64 v6, s[2:3], s8, v26
	v_add_co_u32_e64 v7, s[8:9], s8, v20
	v_addc_co_u32_e64 v0, s[8:9], v0, v21, s[8:9]
	v_addc_co_u32_e32 v1, vcc, v1, v23, vcc
	v_add_co_u32_e32 v38, vcc, v2, v97
	v_addc_co_u32_e64 v2, s[0:1], v3, v25, s[0:1]
	v_addc_co_u32_e64 v3, s[2:3], v5, v27, s[2:3]
	v_add_co_u32_e64 v50, s[8:9], v7, v97
	v_add_co_u32_e64 v36, s[0:1], v4, v97
	;; [unrolled: 1-line block ×3, first 2 shown]
	v_addc_co_u32_e64 v51, s[8:9], 0, v0, s[8:9]
	v_addc_co_u32_e32 v39, vcc, 0, v1, vcc
	v_addc_co_u32_e64 v37, vcc, 0, v2, s[0:1]
	v_addc_co_u32_e64 v41, vcc, 0, v3, s[2:3]
	global_load_dwordx4 v[0:3], v[50:51], off
	global_load_dwordx4 v[4:7], v[38:39], off
	;; [unrolled: 1-line block ×4, first 2 shown]
	v_mov_b32_e32 v32, 0
	v_mov_b32_e32 v33, 0
	s_add_u32 s34, s12, s34
	s_addc_u32 s35, s13, s35
	v_mov_b32_e32 v42, s35
	v_add_co_u32_e32 v43, vcc, s34, v28
	v_mov_b32_e32 v44, s35
	v_add_co_u32_e64 v45, s[0:1], s34, v30
	v_addc_co_u32_e32 v46, vcc, v42, v29, vcc
	v_addc_co_u32_e64 v47, vcc, v44, v31, s[0:1]
	v_add_co_u32_e64 v44, s[0:1], v43, v100
	v_add_co_u32_e32 v42, vcc, v45, v100
	v_addc_co_u32_e64 v45, s[0:1], 0, v46, s[0:1]
	v_addc_co_u32_e32 v43, vcc, 0, v47, vcc
	s_waitcnt vmcnt(3)
	ds_write_b128 v84, v[0:3]
	s_waitcnt vmcnt(2)
	ds_write_b128 v85, v[4:7]
	;; [unrolled: 2-line block ×4, first 2 shown]
	s_waitcnt lgkmcnt(0)
	s_barrier
	ds_read_b128 v[0:3], v89
	ds_read_b128 v[4:7], v88
	ds_read_b128 v[8:11], v89 offset:4608
	s_waitcnt lgkmcnt(1)
	;;#ASMSTART
	v_dot2_f32_f16 v32, v0, v4, v32
	;;#ASMEND
	;;#ASMSTART
	v_dot2_f32_f16 v32, v1, v5, v32
	;;#ASMEND
	;;#ASMSTART
	v_dot2_f32_f16 v32, v2, v6, v32
	;;#ASMEND
	;;#ASMSTART
	v_dot2_f32_f16 v32, v3, v7, v32
	;;#ASMEND
	s_waitcnt lgkmcnt(0)
	;;#ASMSTART
	v_dot2_f32_f16 v33, v8, v4, v33
	;;#ASMEND
	;;#ASMSTART
	v_dot2_f32_f16 v33, v9, v5, v33
	;;#ASMEND
	;;#ASMSTART
	v_dot2_f32_f16 v33, v10, v6, v33
	;;#ASMEND
	;;#ASMSTART
	v_dot2_f32_f16 v33, v11, v7, v33
	;;#ASMEND
	ds_read_b128 v[0:3], v89 offset:16
	ds_read_b128 v[4:7], v88 offset:16
	ds_read_b128 v[8:11], v89 offset:4624
	s_waitcnt lgkmcnt(1)
	;;#ASMSTART
	v_dot2_f32_f16 v32, v0, v4, v32
	;;#ASMEND
	;;#ASMSTART
	v_dot2_f32_f16 v32, v1, v5, v32
	;;#ASMEND
	;;#ASMSTART
	v_dot2_f32_f16 v32, v2, v6, v32
	;;#ASMEND
	;;#ASMSTART
	v_dot2_f32_f16 v32, v3, v7, v32
	;;#ASMEND
	s_waitcnt lgkmcnt(0)
	;;#ASMSTART
	v_dot2_f32_f16 v33, v8, v4, v33
	;;#ASMEND
	;;#ASMSTART
	v_dot2_f32_f16 v33, v9, v5, v33
	;;#ASMEND
	;;#ASMSTART
	v_dot2_f32_f16 v33, v10, v6, v33
	;;#ASMEND
	;;#ASMSTART
	v_dot2_f32_f16 v33, v11, v7, v33
	;;#ASMEND
	ds_read_b128 v[0:3], v89 offset:32
	ds_read_b128 v[4:7], v88 offset:32
	;; [unrolled: 29-line block ×7, first 2 shown]
	ds_read_b128 v[8:11], v89 offset:4720
	s_waitcnt lgkmcnt(1)
	;;#ASMSTART
	v_dot2_f32_f16 v32, v0, v4, v32
	;;#ASMEND
	;;#ASMSTART
	v_dot2_f32_f16 v32, v1, v5, v32
	;;#ASMEND
	;; [unrolled: 3-line block ×4, first 2 shown]
	s_waitcnt lgkmcnt(0)
	;;#ASMSTART
	v_dot2_f32_f16 v33, v8, v4, v33
	;;#ASMEND
	;;#ASMSTART
	v_dot2_f32_f16 v33, v9, v5, v33
	;;#ASMEND
	;; [unrolled: 3-line block ×4, first 2 shown]
	s_barrier
	global_load_dwordx4 v[0:3], v[50:51], off offset:128
	global_load_dwordx4 v[4:7], v[38:39], off offset:128
	;; [unrolled: 1-line block ×4, first 2 shown]
	s_waitcnt vmcnt(3)
	ds_write_b128 v84, v[0:3]
	s_waitcnt vmcnt(2)
	ds_write_b128 v85, v[4:7]
	;; [unrolled: 2-line block ×4, first 2 shown]
	s_waitcnt lgkmcnt(0)
	s_barrier
	ds_read_b128 v[0:3], v89
	ds_read_b128 v[4:7], v88 offset:128
	ds_read_b128 v[8:11], v89 offset:4608
	s_waitcnt lgkmcnt(1)
	;;#ASMSTART
	v_dot2_f32_f16 v32, v0, v4, v32
	;;#ASMEND
	;;#ASMSTART
	v_dot2_f32_f16 v32, v1, v5, v32
	;;#ASMEND
	;;#ASMSTART
	v_dot2_f32_f16 v32, v2, v6, v32
	;;#ASMEND
	;;#ASMSTART
	v_dot2_f32_f16 v32, v3, v7, v32
	;;#ASMEND
	s_waitcnt lgkmcnt(0)
	;;#ASMSTART
	v_dot2_f32_f16 v33, v8, v4, v33
	;;#ASMEND
	;;#ASMSTART
	v_dot2_f32_f16 v33, v9, v5, v33
	;;#ASMEND
	;;#ASMSTART
	v_dot2_f32_f16 v33, v10, v6, v33
	;;#ASMEND
	;;#ASMSTART
	v_dot2_f32_f16 v33, v11, v7, v33
	;;#ASMEND
	ds_read_b128 v[0:3], v89 offset:16
	ds_read_b128 v[4:7], v88 offset:144
	ds_read_b128 v[8:11], v89 offset:4624
	s_waitcnt lgkmcnt(1)
	;;#ASMSTART
	v_dot2_f32_f16 v32, v0, v4, v32
	;;#ASMEND
	;;#ASMSTART
	v_dot2_f32_f16 v32, v1, v5, v32
	;;#ASMEND
	;;#ASMSTART
	v_dot2_f32_f16 v32, v2, v6, v32
	;;#ASMEND
	;;#ASMSTART
	v_dot2_f32_f16 v32, v3, v7, v32
	;;#ASMEND
	s_waitcnt lgkmcnt(0)
	;;#ASMSTART
	v_dot2_f32_f16 v33, v8, v4, v33
	;;#ASMEND
	;;#ASMSTART
	v_dot2_f32_f16 v33, v9, v5, v33
	;;#ASMEND
	;;#ASMSTART
	v_dot2_f32_f16 v33, v10, v6, v33
	;;#ASMEND
	;;#ASMSTART
	v_dot2_f32_f16 v33, v11, v7, v33
	;;#ASMEND
	ds_read_b128 v[0:3], v89 offset:32
	;; [unrolled: 29-line block ×7, first 2 shown]
	ds_read_b128 v[4:7], v88 offset:240
	ds_read_b128 v[8:11], v89 offset:4720
	s_waitcnt lgkmcnt(1)
	;;#ASMSTART
	v_dot2_f32_f16 v32, v0, v4, v32
	;;#ASMEND
	;;#ASMSTART
	v_dot2_f32_f16 v32, v1, v5, v32
	;;#ASMEND
	;; [unrolled: 3-line block ×4, first 2 shown]
	s_waitcnt lgkmcnt(0)
	;;#ASMSTART
	v_dot2_f32_f16 v33, v8, v4, v33
	;;#ASMEND
	;;#ASMSTART
	v_dot2_f32_f16 v33, v9, v5, v33
	;;#ASMEND
	;; [unrolled: 3-line block ×4, first 2 shown]
	s_barrier
	global_load_dwordx4 v[0:3], v[50:51], off offset:256
	global_load_dwordx4 v[4:7], v[38:39], off offset:256
	;; [unrolled: 1-line block ×4, first 2 shown]
	s_waitcnt vmcnt(3)
	ds_write_b128 v84, v[0:3]
	s_waitcnt vmcnt(2)
	ds_write_b128 v85, v[4:7]
	;; [unrolled: 2-line block ×4, first 2 shown]
	s_waitcnt lgkmcnt(0)
	s_barrier
	ds_read_b128 v[0:3], v89
	ds_read_b128 v[4:7], v88 offset:256
	ds_read_b128 v[8:11], v89 offset:4608
	s_waitcnt lgkmcnt(1)
	;;#ASMSTART
	v_dot2_f32_f16 v32, v0, v4, v32
	;;#ASMEND
	;;#ASMSTART
	v_dot2_f32_f16 v32, v1, v5, v32
	;;#ASMEND
	;;#ASMSTART
	v_dot2_f32_f16 v32, v2, v6, v32
	;;#ASMEND
	;;#ASMSTART
	v_dot2_f32_f16 v32, v3, v7, v32
	;;#ASMEND
	s_waitcnt lgkmcnt(0)
	;;#ASMSTART
	v_dot2_f32_f16 v33, v8, v4, v33
	;;#ASMEND
	;;#ASMSTART
	v_dot2_f32_f16 v33, v9, v5, v33
	;;#ASMEND
	;;#ASMSTART
	v_dot2_f32_f16 v33, v10, v6, v33
	;;#ASMEND
	;;#ASMSTART
	v_dot2_f32_f16 v33, v11, v7, v33
	;;#ASMEND
	ds_read_b128 v[0:3], v89 offset:16
	ds_read_b128 v[4:7], v88 offset:272
	ds_read_b128 v[8:11], v89 offset:4624
	s_waitcnt lgkmcnt(1)
	;;#ASMSTART
	v_dot2_f32_f16 v32, v0, v4, v32
	;;#ASMEND
	;;#ASMSTART
	v_dot2_f32_f16 v32, v1, v5, v32
	;;#ASMEND
	;;#ASMSTART
	v_dot2_f32_f16 v32, v2, v6, v32
	;;#ASMEND
	;;#ASMSTART
	v_dot2_f32_f16 v32, v3, v7, v32
	;;#ASMEND
	s_waitcnt lgkmcnt(0)
	;;#ASMSTART
	v_dot2_f32_f16 v33, v8, v4, v33
	;;#ASMEND
	;;#ASMSTART
	v_dot2_f32_f16 v33, v9, v5, v33
	;;#ASMEND
	;;#ASMSTART
	v_dot2_f32_f16 v33, v10, v6, v33
	;;#ASMEND
	;;#ASMSTART
	v_dot2_f32_f16 v33, v11, v7, v33
	;;#ASMEND
	ds_read_b128 v[0:3], v89 offset:32
	;; [unrolled: 29-line block ×7, first 2 shown]
	ds_read_b128 v[4:7], v88 offset:368
	ds_read_b128 v[8:11], v89 offset:4720
	s_waitcnt lgkmcnt(1)
	;;#ASMSTART
	v_dot2_f32_f16 v32, v0, v4, v32
	;;#ASMEND
	;;#ASMSTART
	v_dot2_f32_f16 v32, v1, v5, v32
	;;#ASMEND
	;; [unrolled: 3-line block ×4, first 2 shown]
	s_waitcnt lgkmcnt(0)
	;;#ASMSTART
	v_dot2_f32_f16 v33, v8, v4, v33
	;;#ASMEND
	;;#ASMSTART
	v_dot2_f32_f16 v33, v9, v5, v33
	;;#ASMEND
	;; [unrolled: 3-line block ×4, first 2 shown]
	s_barrier
	global_load_dwordx4 v[0:3], v[50:51], off offset:384
	global_load_dwordx4 v[4:7], v[38:39], off offset:384
	;; [unrolled: 1-line block ×4, first 2 shown]
	s_waitcnt vmcnt(3)
	ds_write_b128 v84, v[0:3]
	s_waitcnt vmcnt(2)
	ds_write_b128 v85, v[4:7]
	s_waitcnt vmcnt(1)
	ds_write_b128 v86, v[8:11]
	s_waitcnt vmcnt(0)
	ds_write_b128 v87, v[12:15]
	s_waitcnt lgkmcnt(0)
	s_barrier
	ds_read_b128 v[0:3], v89
	ds_read_b128 v[4:7], v88 offset:384
	ds_read_b128 v[8:11], v89 offset:4608
	s_waitcnt lgkmcnt(1)
	;;#ASMSTART
	v_dot2_f32_f16 v32, v0, v4, v32
	;;#ASMEND
	;;#ASMSTART
	v_dot2_f32_f16 v32, v1, v5, v32
	;;#ASMEND
	;;#ASMSTART
	v_dot2_f32_f16 v32, v2, v6, v32
	;;#ASMEND
	;;#ASMSTART
	v_dot2_f32_f16 v32, v3, v7, v32
	;;#ASMEND
	s_waitcnt lgkmcnt(0)
	;;#ASMSTART
	v_dot2_f32_f16 v33, v8, v4, v33
	;;#ASMEND
	;;#ASMSTART
	v_dot2_f32_f16 v33, v9, v5, v33
	;;#ASMEND
	;;#ASMSTART
	v_dot2_f32_f16 v33, v10, v6, v33
	;;#ASMEND
	;;#ASMSTART
	v_dot2_f32_f16 v33, v11, v7, v33
	;;#ASMEND
	ds_read_b128 v[0:3], v89 offset:16
	ds_read_b128 v[4:7], v88 offset:400
	ds_read_b128 v[8:11], v89 offset:4624
	s_waitcnt lgkmcnt(1)
	;;#ASMSTART
	v_dot2_f32_f16 v32, v0, v4, v32
	;;#ASMEND
	;;#ASMSTART
	v_dot2_f32_f16 v32, v1, v5, v32
	;;#ASMEND
	;;#ASMSTART
	v_dot2_f32_f16 v32, v2, v6, v32
	;;#ASMEND
	;;#ASMSTART
	v_dot2_f32_f16 v32, v3, v7, v32
	;;#ASMEND
	s_waitcnt lgkmcnt(0)
	;;#ASMSTART
	v_dot2_f32_f16 v33, v8, v4, v33
	;;#ASMEND
	;;#ASMSTART
	v_dot2_f32_f16 v33, v9, v5, v33
	;;#ASMEND
	;;#ASMSTART
	v_dot2_f32_f16 v33, v10, v6, v33
	;;#ASMEND
	;;#ASMSTART
	v_dot2_f32_f16 v33, v11, v7, v33
	;;#ASMEND
	ds_read_b128 v[0:3], v89 offset:32
	;; [unrolled: 29-line block ×7, first 2 shown]
	ds_read_b128 v[4:7], v88 offset:496
	ds_read_b128 v[8:11], v89 offset:4720
	s_waitcnt lgkmcnt(1)
	;;#ASMSTART
	v_dot2_f32_f16 v32, v0, v4, v32
	;;#ASMEND
	;;#ASMSTART
	v_dot2_f32_f16 v32, v1, v5, v32
	;;#ASMEND
	;; [unrolled: 3-line block ×4, first 2 shown]
	s_waitcnt lgkmcnt(0)
	;;#ASMSTART
	v_dot2_f32_f16 v33, v8, v4, v33
	;;#ASMEND
	;;#ASMSTART
	v_dot2_f32_f16 v33, v9, v5, v33
	;;#ASMEND
	;; [unrolled: 3-line block ×4, first 2 shown]
	s_barrier
	global_load_dwordx4 v[0:3], v[50:51], off offset:512
	global_load_dwordx4 v[4:7], v[38:39], off offset:512
	;; [unrolled: 1-line block ×4, first 2 shown]
	s_waitcnt vmcnt(3)
	ds_write_b128 v84, v[0:3]
	s_waitcnt vmcnt(2)
	ds_write_b128 v85, v[4:7]
	;; [unrolled: 2-line block ×4, first 2 shown]
	s_waitcnt lgkmcnt(0)
	s_barrier
	ds_read_b128 v[0:3], v89
	ds_read_b128 v[4:7], v88 offset:512
	ds_read_b128 v[8:11], v89 offset:4608
	s_waitcnt lgkmcnt(1)
	;;#ASMSTART
	v_dot2_f32_f16 v32, v0, v4, v32
	;;#ASMEND
	;;#ASMSTART
	v_dot2_f32_f16 v32, v1, v5, v32
	;;#ASMEND
	;;#ASMSTART
	v_dot2_f32_f16 v32, v2, v6, v32
	;;#ASMEND
	;;#ASMSTART
	v_dot2_f32_f16 v32, v3, v7, v32
	;;#ASMEND
	s_waitcnt lgkmcnt(0)
	;;#ASMSTART
	v_dot2_f32_f16 v33, v8, v4, v33
	;;#ASMEND
	;;#ASMSTART
	v_dot2_f32_f16 v33, v9, v5, v33
	;;#ASMEND
	;;#ASMSTART
	v_dot2_f32_f16 v33, v10, v6, v33
	;;#ASMEND
	;;#ASMSTART
	v_dot2_f32_f16 v33, v11, v7, v33
	;;#ASMEND
	ds_read_b128 v[0:3], v89 offset:16
	ds_read_b128 v[4:7], v88 offset:528
	ds_read_b128 v[8:11], v89 offset:4624
	s_waitcnt lgkmcnt(1)
	;;#ASMSTART
	v_dot2_f32_f16 v32, v0, v4, v32
	;;#ASMEND
	;;#ASMSTART
	v_dot2_f32_f16 v32, v1, v5, v32
	;;#ASMEND
	;;#ASMSTART
	v_dot2_f32_f16 v32, v2, v6, v32
	;;#ASMEND
	;;#ASMSTART
	v_dot2_f32_f16 v32, v3, v7, v32
	;;#ASMEND
	s_waitcnt lgkmcnt(0)
	;;#ASMSTART
	v_dot2_f32_f16 v33, v8, v4, v33
	;;#ASMEND
	;;#ASMSTART
	v_dot2_f32_f16 v33, v9, v5, v33
	;;#ASMEND
	;;#ASMSTART
	v_dot2_f32_f16 v33, v10, v6, v33
	;;#ASMEND
	;;#ASMSTART
	v_dot2_f32_f16 v33, v11, v7, v33
	;;#ASMEND
	ds_read_b128 v[0:3], v89 offset:32
	;; [unrolled: 29-line block ×7, first 2 shown]
	ds_read_b128 v[4:7], v88 offset:624
	ds_read_b128 v[8:11], v89 offset:4720
	s_waitcnt lgkmcnt(1)
	;;#ASMSTART
	v_dot2_f32_f16 v32, v0, v4, v32
	;;#ASMEND
	;;#ASMSTART
	v_dot2_f32_f16 v32, v1, v5, v32
	;;#ASMEND
	;; [unrolled: 3-line block ×4, first 2 shown]
	s_waitcnt lgkmcnt(0)
	;;#ASMSTART
	v_dot2_f32_f16 v33, v8, v4, v33
	;;#ASMEND
	;;#ASMSTART
	v_dot2_f32_f16 v33, v9, v5, v33
	;;#ASMEND
	;; [unrolled: 3-line block ×4, first 2 shown]
	s_barrier
	global_load_dwordx4 v[0:3], v[50:51], off offset:640
	global_load_dwordx4 v[4:7], v[38:39], off offset:640
	;; [unrolled: 1-line block ×4, first 2 shown]
	s_waitcnt vmcnt(3)
	ds_write_b128 v84, v[0:3]
	s_waitcnt vmcnt(2)
	ds_write_b128 v85, v[4:7]
	;; [unrolled: 2-line block ×4, first 2 shown]
	s_waitcnt lgkmcnt(0)
	s_barrier
	ds_read_b128 v[0:3], v89
	ds_read_b128 v[4:7], v88 offset:640
	ds_read_b128 v[8:11], v89 offset:4608
	s_waitcnt lgkmcnt(1)
	;;#ASMSTART
	v_dot2_f32_f16 v32, v0, v4, v32
	;;#ASMEND
	;;#ASMSTART
	v_dot2_f32_f16 v32, v1, v5, v32
	;;#ASMEND
	;;#ASMSTART
	v_dot2_f32_f16 v32, v2, v6, v32
	;;#ASMEND
	;;#ASMSTART
	v_dot2_f32_f16 v32, v3, v7, v32
	;;#ASMEND
	s_waitcnt lgkmcnt(0)
	;;#ASMSTART
	v_dot2_f32_f16 v33, v8, v4, v33
	;;#ASMEND
	;;#ASMSTART
	v_dot2_f32_f16 v33, v9, v5, v33
	;;#ASMEND
	;;#ASMSTART
	v_dot2_f32_f16 v33, v10, v6, v33
	;;#ASMEND
	;;#ASMSTART
	v_dot2_f32_f16 v33, v11, v7, v33
	;;#ASMEND
	ds_read_b128 v[0:3], v89 offset:16
	ds_read_b128 v[4:7], v88 offset:656
	ds_read_b128 v[8:11], v89 offset:4624
	s_waitcnt lgkmcnt(1)
	;;#ASMSTART
	v_dot2_f32_f16 v32, v0, v4, v32
	;;#ASMEND
	;;#ASMSTART
	v_dot2_f32_f16 v32, v1, v5, v32
	;;#ASMEND
	;;#ASMSTART
	v_dot2_f32_f16 v32, v2, v6, v32
	;;#ASMEND
	;;#ASMSTART
	v_dot2_f32_f16 v32, v3, v7, v32
	;;#ASMEND
	s_waitcnt lgkmcnt(0)
	;;#ASMSTART
	v_dot2_f32_f16 v33, v8, v4, v33
	;;#ASMEND
	;;#ASMSTART
	v_dot2_f32_f16 v33, v9, v5, v33
	;;#ASMEND
	;;#ASMSTART
	v_dot2_f32_f16 v33, v10, v6, v33
	;;#ASMEND
	;;#ASMSTART
	v_dot2_f32_f16 v33, v11, v7, v33
	;;#ASMEND
	ds_read_b128 v[0:3], v89 offset:32
	;; [unrolled: 29-line block ×7, first 2 shown]
	ds_read_b128 v[4:7], v88 offset:752
	ds_read_b128 v[8:11], v89 offset:4720
	s_waitcnt lgkmcnt(1)
	;;#ASMSTART
	v_dot2_f32_f16 v32, v0, v4, v32
	;;#ASMEND
	;;#ASMSTART
	v_dot2_f32_f16 v32, v1, v5, v32
	;;#ASMEND
	;; [unrolled: 3-line block ×4, first 2 shown]
	s_waitcnt lgkmcnt(0)
	;;#ASMSTART
	v_dot2_f32_f16 v33, v8, v4, v33
	;;#ASMEND
	;;#ASMSTART
	v_dot2_f32_f16 v33, v9, v5, v33
	;;#ASMEND
	;; [unrolled: 3-line block ×4, first 2 shown]
	s_barrier
	global_load_dwordx4 v[0:3], v[50:51], off offset:768
	global_load_dwordx4 v[4:7], v[38:39], off offset:768
	;; [unrolled: 1-line block ×4, first 2 shown]
	s_waitcnt vmcnt(3)
	ds_write_b128 v84, v[0:3]
	s_waitcnt vmcnt(2)
	ds_write_b128 v85, v[4:7]
	;; [unrolled: 2-line block ×4, first 2 shown]
	s_waitcnt lgkmcnt(0)
	s_barrier
	ds_read_b128 v[0:3], v89
	ds_read_b128 v[4:7], v88 offset:768
	ds_read_b128 v[8:11], v89 offset:4608
	s_waitcnt lgkmcnt(1)
	;;#ASMSTART
	v_dot2_f32_f16 v32, v0, v4, v32
	;;#ASMEND
	;;#ASMSTART
	v_dot2_f32_f16 v32, v1, v5, v32
	;;#ASMEND
	;;#ASMSTART
	v_dot2_f32_f16 v32, v2, v6, v32
	;;#ASMEND
	;;#ASMSTART
	v_dot2_f32_f16 v32, v3, v7, v32
	;;#ASMEND
	s_waitcnt lgkmcnt(0)
	;;#ASMSTART
	v_dot2_f32_f16 v33, v8, v4, v33
	;;#ASMEND
	;;#ASMSTART
	v_dot2_f32_f16 v33, v9, v5, v33
	;;#ASMEND
	;;#ASMSTART
	v_dot2_f32_f16 v33, v10, v6, v33
	;;#ASMEND
	;;#ASMSTART
	v_dot2_f32_f16 v33, v11, v7, v33
	;;#ASMEND
	ds_read_b128 v[0:3], v89 offset:16
	ds_read_b128 v[4:7], v88 offset:784
	ds_read_b128 v[8:11], v89 offset:4624
	s_waitcnt lgkmcnt(1)
	;;#ASMSTART
	v_dot2_f32_f16 v32, v0, v4, v32
	;;#ASMEND
	;;#ASMSTART
	v_dot2_f32_f16 v32, v1, v5, v32
	;;#ASMEND
	;;#ASMSTART
	v_dot2_f32_f16 v32, v2, v6, v32
	;;#ASMEND
	;;#ASMSTART
	v_dot2_f32_f16 v32, v3, v7, v32
	;;#ASMEND
	s_waitcnt lgkmcnt(0)
	;;#ASMSTART
	v_dot2_f32_f16 v33, v8, v4, v33
	;;#ASMEND
	;;#ASMSTART
	v_dot2_f32_f16 v33, v9, v5, v33
	;;#ASMEND
	;;#ASMSTART
	v_dot2_f32_f16 v33, v10, v6, v33
	;;#ASMEND
	;;#ASMSTART
	v_dot2_f32_f16 v33, v11, v7, v33
	;;#ASMEND
	ds_read_b128 v[0:3], v89 offset:32
	;; [unrolled: 29-line block ×7, first 2 shown]
	ds_read_b128 v[4:7], v88 offset:880
	ds_read_b128 v[8:11], v89 offset:4720
	s_waitcnt lgkmcnt(1)
	;;#ASMSTART
	v_dot2_f32_f16 v32, v0, v4, v32
	;;#ASMEND
	;;#ASMSTART
	v_dot2_f32_f16 v32, v1, v5, v32
	;;#ASMEND
	;; [unrolled: 3-line block ×4, first 2 shown]
	s_waitcnt lgkmcnt(0)
	;;#ASMSTART
	v_dot2_f32_f16 v33, v8, v4, v33
	;;#ASMEND
	;;#ASMSTART
	v_dot2_f32_f16 v33, v9, v5, v33
	;;#ASMEND
	;; [unrolled: 3-line block ×4, first 2 shown]
	s_barrier
	global_load_dwordx4 v[0:3], v[50:51], off offset:896
	global_load_dwordx4 v[4:7], v[38:39], off offset:896
	global_load_dwordx4 v[8:11], v[36:37], off offset:896
	global_load_dwordx4 v[12:15], v[40:41], off offset:896
	s_waitcnt vmcnt(3)
	ds_write_b128 v84, v[0:3]
	s_waitcnt vmcnt(2)
	ds_write_b128 v85, v[4:7]
	s_waitcnt vmcnt(1)
	ds_write_b128 v86, v[8:11]
	s_waitcnt vmcnt(0)
	ds_write_b128 v87, v[12:15]
	s_waitcnt lgkmcnt(0)
	s_barrier
	ds_read_b128 v[0:3], v89
	ds_read_b128 v[4:7], v88 offset:896
	ds_read_b128 v[8:11], v89 offset:4608
	s_waitcnt lgkmcnt(1)
	;;#ASMSTART
	v_dot2_f32_f16 v32, v0, v4, v32
	;;#ASMEND
	;;#ASMSTART
	v_dot2_f32_f16 v32, v1, v5, v32
	;;#ASMEND
	;;#ASMSTART
	v_dot2_f32_f16 v32, v2, v6, v32
	;;#ASMEND
	;;#ASMSTART
	v_dot2_f32_f16 v32, v3, v7, v32
	;;#ASMEND
	s_waitcnt lgkmcnt(0)
	;;#ASMSTART
	v_dot2_f32_f16 v33, v8, v4, v33
	;;#ASMEND
	;;#ASMSTART
	v_dot2_f32_f16 v33, v9, v5, v33
	;;#ASMEND
	;;#ASMSTART
	v_dot2_f32_f16 v33, v10, v6, v33
	;;#ASMEND
	;;#ASMSTART
	v_dot2_f32_f16 v33, v11, v7, v33
	;;#ASMEND
	ds_read_b128 v[0:3], v89 offset:16
	ds_read_b128 v[4:7], v88 offset:912
	ds_read_b128 v[8:11], v89 offset:4624
	s_waitcnt lgkmcnt(1)
	;;#ASMSTART
	v_dot2_f32_f16 v32, v0, v4, v32
	;;#ASMEND
	;;#ASMSTART
	v_dot2_f32_f16 v32, v1, v5, v32
	;;#ASMEND
	;;#ASMSTART
	v_dot2_f32_f16 v32, v2, v6, v32
	;;#ASMEND
	;;#ASMSTART
	v_dot2_f32_f16 v32, v3, v7, v32
	;;#ASMEND
	s_waitcnt lgkmcnt(0)
	;;#ASMSTART
	v_dot2_f32_f16 v33, v8, v4, v33
	;;#ASMEND
	;;#ASMSTART
	v_dot2_f32_f16 v33, v9, v5, v33
	;;#ASMEND
	;;#ASMSTART
	v_dot2_f32_f16 v33, v10, v6, v33
	;;#ASMEND
	;;#ASMSTART
	v_dot2_f32_f16 v33, v11, v7, v33
	;;#ASMEND
	ds_read_b128 v[0:3], v89 offset:32
	;; [unrolled: 29-line block ×7, first 2 shown]
	ds_read_b128 v[4:7], v88 offset:1008
	ds_read_b128 v[8:11], v89 offset:4720
	s_waitcnt lgkmcnt(1)
	;;#ASMSTART
	v_dot2_f32_f16 v32, v0, v4, v32
	;;#ASMEND
	;;#ASMSTART
	v_dot2_f32_f16 v32, v1, v5, v32
	;;#ASMEND
	;; [unrolled: 3-line block ×4, first 2 shown]
	s_waitcnt lgkmcnt(0)
	;;#ASMSTART
	v_dot2_f32_f16 v33, v8, v4, v33
	;;#ASMEND
	;;#ASMSTART
	v_dot2_f32_f16 v33, v9, v5, v33
	;;#ASMEND
	;; [unrolled: 3-line block ×4, first 2 shown]
	flat_load_ushort v0, v[34:35] offset:64
	flat_load_ushort v14, v[34:35]
	s_waitcnt lgkmcnt(0)
	s_barrier
	global_load_dwordx4 v[2:5], v[44:45], off
	global_load_dwordx4 v[6:9], v[44:45], off offset:512
	global_load_dwordx4 v[10:13], v[42:43], off
	global_load_dwordx4 v[34:37], v[42:43], off offset:512
	s_or_b32 s36, s6, 8
	s_mul_hi_i32 s3, s36, s14
	s_mul_i32 s2, s36, s14
	s_lshl_b64 s[2:3], s[2:3], 2
	s_add_u32 s0, s12, s2
	s_addc_u32 s1, s13, s3
	v_mov_b32_e32 v46, s1
	v_mov_b32_e32 v47, s1
	v_add_co_u32_e32 v48, vcc, s0, v30
	v_add_co_u32_e64 v49, s[0:1], s0, v28
	s_or_b32 s2, s6, 16
	v_addc_co_u32_e64 v52, s[0:1], v46, v29, s[0:1]
	v_addc_co_u32_e32 v47, vcc, v47, v31, vcc
	s_mul_hi_i32 s3, s2, s14
	s_mul_i32 s2, s2, s14
	v_add_co_u32_e32 v46, vcc, v48, v100
	v_add_co_u32_e64 v48, s[0:1], v49, v100
	s_lshl_b64 s[2:3], s[2:3], 2
	v_addc_co_u32_e64 v49, s[0:1], 0, v52, s[0:1]
	s_add_u32 s0, s12, s2
	v_addc_co_u32_e32 v47, vcc, 0, v47, vcc
	s_addc_u32 s1, s13, s3
	v_mov_b32_e32 v52, s1
	v_mov_b32_e32 v53, s1
	v_add_co_u32_e32 v54, vcc, s0, v30
	v_add_co_u32_e64 v55, s[0:1], s0, v28
	s_or_b32 s2, s6, 24
	v_addc_co_u32_e64 v56, s[0:1], v52, v29, s[0:1]
	v_addc_co_u32_e32 v53, vcc, v53, v31, vcc
	s_mul_hi_i32 s3, s2, s14
	s_mul_i32 s2, s2, s14
	v_add_co_u32_e32 v52, vcc, v54, v100
	v_add_co_u32_e64 v54, s[0:1], v55, v100
	s_lshl_b64 s[2:3], s[2:3], 2
	v_addc_co_u32_e64 v55, s[0:1], 0, v56, s[0:1]
	s_add_u32 s0, s12, s2
	v_addc_co_u32_e32 v53, vcc, 0, v53, vcc
	s_addc_u32 s1, s13, s3
	v_mov_b32_e32 v56, s1
	v_mov_b32_e32 v57, s1
	v_add_co_u32_e32 v58, vcc, s0, v30
	v_add_co_u32_e64 v59, s[0:1], s0, v28
	s_or_b32 s2, s6, 32
	v_addc_co_u32_e64 v60, s[0:1], v56, v29, s[0:1]
	v_addc_co_u32_e32 v57, vcc, v57, v31, vcc
	s_mul_hi_i32 s3, s2, s14
	s_mul_i32 s2, s2, s14
	v_add_co_u32_e32 v56, vcc, v58, v100
	v_add_co_u32_e64 v58, s[0:1], v59, v100
	s_lshl_b64 s[2:3], s[2:3], 2
	v_addc_co_u32_e64 v59, s[0:1], 0, v60, s[0:1]
	s_waitcnt vmcnt(0)
	v_cvt_f32_f16_e32 v1, v0
	v_cvt_f32_f16_e32 v0, v14
	s_add_u32 s0, s12, s2
	v_addc_co_u32_e32 v57, vcc, 0, v57, vcc
	v_pk_add_f32 v[14:15], v[32:33], v[0:1]
	v_add_f32_e32 v0, 0x40051340, v14
	v_add_f32_e32 v1, 0x40051340, v15
	v_max3_f32 v0, v112, v0, v1
	ds_bpermute_b32 v1, v118, v0
	s_addc_u32 s1, s13, s3
	v_mov_b32_e32 v60, s1
	v_mov_b32_e32 v61, s1
	v_add_co_u32_e32 v62, vcc, s0, v30
	s_waitcnt lgkmcnt(0)
	v_max_f32_e32 v1, v1, v1
	v_max_f32_e32 v0, v0, v1
	ds_bpermute_b32 v1, v117, v0
	v_add_co_u32_e64 v63, s[0:1], s0, v28
	s_or_b32 s2, s6, 40
	v_addc_co_u32_e64 v64, s[0:1], v60, v29, s[0:1]
	s_waitcnt lgkmcnt(0)
	v_max_f32_e32 v1, v1, v1
	v_max_f32_e32 v0, v0, v1
	ds_bpermute_b32 v1, v116, v0
	v_addc_co_u32_e32 v61, vcc, v61, v31, vcc
	s_mul_hi_i32 s3, s2, s14
	s_mul_i32 s2, s2, s14
	s_waitcnt lgkmcnt(0)
	v_max_f32_e32 v1, v1, v1
	v_max_f32_e32 v0, v0, v1
	ds_bpermute_b32 v1, v115, v0
	v_add_co_u32_e32 v60, vcc, v62, v100
	v_add_co_u32_e64 v62, s[0:1], v63, v100
	s_lshl_b64 s[2:3], s[2:3], 2
	v_addc_co_u32_e64 v63, s[0:1], 0, v64, s[0:1]
	s_waitcnt lgkmcnt(0)
	v_max_f32_e32 v1, v1, v1
	s_add_u32 s0, s12, s2
	v_max_f32_e32 v0, v0, v1
	v_addc_co_u32_e32 v61, vcc, 0, v61, vcc
	s_addc_u32 s1, s13, s3
	ds_bpermute_b32 v1, v114, v0
	v_mov_b32_e32 v64, s1
	v_mov_b32_e32 v65, s1
	v_add_co_u32_e32 v66, vcc, s0, v30
	v_add_co_u32_e64 v67, s[0:1], s0, v28
	s_or_b32 s2, s6, 48
	v_addc_co_u32_e64 v64, s[0:1], v64, v29, s[0:1]
	s_mul_hi_i32 s3, s2, s14
	s_mul_i32 s2, s2, s14
	v_add_co_u32_e64 v70, s[0:1], v67, v100
	v_addc_co_u32_e32 v65, vcc, v65, v31, vcc
	s_lshl_b64 s[2:3], s[2:3], 2
	v_addc_co_u32_e64 v71, s[0:1], 0, v64, s[0:1]
	v_add_co_u32_e32 v68, vcc, v66, v100
	s_add_u32 s0, s12, s2
	s_waitcnt lgkmcnt(0)
	v_max_f32_e32 v1, v1, v1
	v_addc_co_u32_e32 v69, vcc, 0, v65, vcc
	s_addc_u32 s1, s13, s3
	v_max_f32_e32 v0, v0, v1
	v_mov_b32_e32 v64, s1
	v_mov_b32_e32 v65, s1
	v_add_co_u32_e32 v66, vcc, s0, v30
	v_add_co_u32_e64 v67, s[0:1], s0, v28
	v_sub_f32_e32 v1, v112, v0
	s_or_b32 s2, s6, 56
	v_addc_co_u32_e64 v64, s[0:1], v64, v29, s[0:1]
	v_pk_add_f32 v[14:15], v[14:15], v[0:1] op_sel_hi:[1,0] neg_lo:[0,1] neg_hi:[0,1]
	s_mul_hi_i32 s3, s2, s14
	s_mul_i32 s2, s2, s14
	v_add_co_u32_e64 v74, s[0:1], v67, v100
	v_mul_f32_e32 v33, 0x3fb8aa3b, v14
	v_addc_co_u32_e32 v65, vcc, v65, v31, vcc
	s_lshl_b64 s[2:3], s[2:3], 2
	v_addc_co_u32_e64 v75, s[0:1], 0, v64, s[0:1]
	v_mul_f32_e32 v32, 0x3fb8aa3b, v15
	v_fma_f32 v41, v14, s24, -v33
	v_rndne_f32_e32 v42, v33
	v_add_co_u32_e32 v72, vcc, v66, v100
	s_add_u32 s0, s12, s2
	v_mul_f32_e32 v38, 0x3fb8aa3b, v1
	v_fma_f32 v39, v15, s24, -v32
	v_rndne_f32_e32 v40, v32
	v_fmac_f32_e32 v41, 0x32a5705f, v14
	v_sub_f32_e32 v33, v33, v42
	v_addc_co_u32_e32 v73, vcc, 0, v65, vcc
	s_addc_u32 s1, s13, s3
	v_fma_f32 v43, v1, s24, -v38
	v_rndne_f32_e32 v44, v38
	v_fmac_f32_e32 v39, 0x32a5705f, v15
	v_sub_f32_e32 v32, v32, v40
	v_add_f32_e32 v33, v33, v41
	v_mov_b32_e32 v65, s1
	v_add_co_u32_e32 v66, vcc, s0, v30
	v_cvt_i32_f32_e32 v42, v42
	v_fmac_f32_e32 v43, 0x32a5705f, v1
	v_sub_f32_e32 v38, v38, v44
	v_add_f32_e32 v32, v32, v39
	v_exp_f32_e32 v33, v33
	v_mov_b32_e32 v64, s1
	v_add_co_u32_e64 v67, s[0:1], s0, v28
	v_addc_co_u32_e32 v65, vcc, v65, v31, vcc
	v_cvt_i32_f32_e32 v40, v40
	v_add_f32_e32 v38, v38, v43
	v_exp_f32_e32 v32, v32
	v_addc_co_u32_e64 v119, s[0:1], v64, v29, s[0:1]
	v_add_co_u32_e32 v64, vcc, v66, v100
	v_cvt_i32_f32_e32 v44, v44
	v_exp_f32_e32 v38, v38
	v_addc_co_u32_e32 v65, vcc, 0, v65, vcc
	v_add_co_u32_e64 v66, s[0:1], v67, v100
	v_ldexp_f32 v33, v33, v42
	v_cmp_ngt_f32_e32 vcc, s25, v14
	v_addc_co_u32_e64 v67, s[0:1], 0, v119, s[0:1]
	v_ldexp_f32 v32, v32, v40
	v_cmp_ngt_f32_e64 s[2:3], s25, v15
	v_cndmask_b32_e32 v33, 0, v33, vcc
	v_cmp_nlt_f32_e32 vcc, s31, v14
	v_ldexp_f32 v38, v38, v44
	v_cmp_ngt_f32_e64 s[0:1], s25, v1
	v_cndmask_b32_e64 v32, 0, v32, s[2:3]
	v_cmp_nlt_f32_e64 s[2:3], s31, v15
	v_cndmask_b32_e32 v15, v99, v33, vcc
	v_cndmask_b32_e64 v14, 0, v38, s[0:1]
	v_cmp_nlt_f32_e64 s[0:1], s31, v1
	v_cndmask_b32_e64 v1, v99, v32, s[2:3]
	v_cvt_f16_f32_e32 v32, v15
	v_cvt_f16_f32_e32 v33, v1
	v_add_f32_e32 v15, v15, v1
	v_cndmask_b32_e64 v14, v99, v14, s[0:1]
	v_mov_b32_e32 v1, v15
	v_fmac_f32_e32 v1, v113, v14
	ds_write_b16 v91, v32
	ds_write_b16 v91, v33 offset:64
	ds_write_b128 v92, v[2:5]
	ds_write_b128 v93, v[6:9]
	ds_write_b128 v94, v[10:13]
	ds_write_b128 v95, v[34:37]
	s_waitcnt lgkmcnt(0)
	s_barrier
	ds_read2_b64 v[2:5], v96 offset1:32
	ds_read2_b64 v[6:9], v96 offset0:64 offset1:96
	ds_read_b128 v[10:13], v90
	ds_read2_b64 v[32:35], v96 offset0:128 offset1:160
	ds_read2_b64 v[36:39], v96 offset0:192 offset1:224
	ds_read2_b64 v[40:43], v101 offset1:32
	ds_read2_b64 v[112:115], v101 offset0:64 offset1:96
	ds_read2_b64 v[116:119], v101 offset0:128 offset1:160
	ds_read2_b64 v[120:123], v101 offset0:192 offset1:224
	ds_read2_b64 v[124:127], v102 offset1:32
	ds_read2_b64 v[128:131], v102 offset0:64 offset1:96
	;; [unrolled: 4-line block ×3, first 2 shown]
	ds_read2_b64 v[148:151], v103 offset0:128 offset1:160
	ds_read2_b64 v[152:155], v103 offset0:192 offset1:224
	s_waitcnt lgkmcnt(0)
	s_barrier
	global_load_dwordx4 v[156:159], v[48:49], off
	s_nop 0
	global_load_dwordx4 v[48:51], v[48:49], off offset:512
	s_nop 0
	global_load_dwordx4 v[160:163], v[46:47], off
	s_nop 0
	global_load_dwordx4 v[44:47], v[46:47], off offset:512
	v_cvt_f16_f32_e32 v164, v14
	v_pk_mul_f16 v2, v2, v10 op_sel_hi:[1,0]
	v_pk_mul_f16 v3, v3, v10 op_sel_hi:[1,0]
	s_waitcnt vmcnt(3)
	ds_write_b128 v92, v[156:159]
	s_waitcnt vmcnt(2)
	ds_write_b128 v93, v[48:51]
	;; [unrolled: 2-line block ×4, first 2 shown]
	v_pk_mul_f16 v14, v164, v109 op_sel_hi:[0,1]
	v_pk_mul_f16 v15, v164, v108 op_sel_hi:[0,1]
	;; [unrolled: 1-line block ×6, first 2 shown]
	v_pk_fma_f16 v4, v4, v10, v14 op_sel_hi:[1,0,1]
	v_pk_fma_f16 v5, v5, v10, v15 op_sel_hi:[1,0,1]
	v_pk_fma_f16 v6, v6, v10, v107 op_sel_hi:[1,0,1]
	v_pk_fma_f16 v7, v7, v10, v106 op_sel_hi:[1,0,1]
	v_pk_fma_f16 v8, v8, v10, v105 op_sel_hi:[1,0,1]
	v_pk_fma_f16 v9, v9, v10, v104 op_sel_hi:[1,0,1]
	v_pk_fma_f16 v2, v111, v164, v2 op_sel_hi:[1,0,1]
	v_pk_fma_f16 v3, v110, v164, v3 op_sel_hi:[1,0,1]
	v_pk_fma_f16 v4, v34, v10, v4 op_sel:[0,1,0]
	v_pk_fma_f16 v5, v35, v10, v5 op_sel:[0,1,0]
	v_pk_fma_f16 v6, v36, v10, v6 op_sel:[0,1,0]
	v_pk_fma_f16 v7, v37, v10, v7 op_sel:[0,1,0]
	v_pk_fma_f16 v8, v38, v10, v8 op_sel:[0,1,0]
	v_pk_fma_f16 v9, v39, v10, v9 op_sel:[0,1,0]
	v_pk_fma_f16 v2, v32, v10, v2 op_sel:[0,1,0]
	v_pk_fma_f16 v3, v33, v10, v3 op_sel:[0,1,0]
	v_pk_fma_f16 v4, v42, v11, v4 op_sel_hi:[1,0,1]
	v_pk_fma_f16 v5, v43, v11, v5 op_sel_hi:[1,0,1]
	v_pk_fma_f16 v6, v112, v11, v6 op_sel_hi:[1,0,1]
	v_pk_fma_f16 v7, v113, v11, v7 op_sel_hi:[1,0,1]
	v_pk_fma_f16 v8, v114, v11, v8 op_sel_hi:[1,0,1]
	v_pk_fma_f16 v9, v115, v11, v9 op_sel_hi:[1,0,1]
	v_pk_fma_f16 v2, v40, v11, v2 op_sel_hi:[1,0,1]
	v_pk_fma_f16 v3, v41, v11, v3 op_sel_hi:[1,0,1]
	v_pk_fma_f16 v4, v118, v11, v4 op_sel:[0,1,0]
	v_pk_fma_f16 v5, v119, v11, v5 op_sel:[0,1,0]
	v_pk_fma_f16 v6, v120, v11, v6 op_sel:[0,1,0]
	v_pk_fma_f16 v7, v121, v11, v7 op_sel:[0,1,0]
	v_pk_fma_f16 v8, v122, v11, v8 op_sel:[0,1,0]
	v_pk_fma_f16 v9, v123, v11, v9 op_sel:[0,1,0]
	v_pk_fma_f16 v2, v116, v11, v2 op_sel:[0,1,0]
	v_pk_fma_f16 v3, v117, v11, v3 op_sel:[0,1,0]
	;; [unrolled: 16-line block ×4, first 2 shown]
	s_waitcnt lgkmcnt(0)
	s_barrier
	ds_read2_b64 v[2:5], v96 offset1:32
	ds_read2_b64 v[6:9], v96 offset0:64 offset1:96
	ds_read_b128 v[10:13], v90 offset:16
	ds_read2_b64 v[32:35], v96 offset0:128 offset1:160
	ds_read2_b64 v[36:39], v96 offset0:192 offset1:224
	ds_read2_b64 v[40:43], v101 offset1:32
	ds_read2_b64 v[44:47], v101 offset0:64 offset1:96
	ds_read2_b64 v[48:51], v101 offset0:128 offset1:160
	ds_read2_b64 v[104:107], v101 offset0:192 offset1:224
	ds_read2_b64 v[108:111], v102 offset1:32
	ds_read2_b64 v[112:115], v102 offset0:64 offset1:96
	;; [unrolled: 4-line block ×3, first 2 shown]
	ds_read2_b64 v[132:135], v103 offset0:128 offset1:160
	ds_read2_b64 v[136:139], v103 offset0:192 offset1:224
	s_waitcnt lgkmcnt(0)
	s_barrier
	global_load_dwordx4 v[140:143], v[54:55], off
	global_load_dwordx4 v[144:147], v[54:55], off offset:512
	global_load_dwordx4 v[148:151], v[52:53], off
	s_nop 0
	global_load_dwordx4 v[52:55], v[52:53], off offset:512
	v_pk_fma_f16 v2, v2, v10, v164 op_sel_hi:[1,0,1]
	v_pk_fma_f16 v3, v3, v10, v165 op_sel_hi:[1,0,1]
	v_pk_fma_f16 v4, v4, v10, v14 op_sel_hi:[1,0,1]
	v_pk_fma_f16 v5, v5, v10, v15 op_sel_hi:[1,0,1]
	v_pk_fma_f16 v6, v6, v10, v152 op_sel_hi:[1,0,1]
	v_pk_fma_f16 v7, v7, v10, v153 op_sel_hi:[1,0,1]
	v_pk_fma_f16 v8, v8, v10, v154 op_sel_hi:[1,0,1]
	v_pk_fma_f16 v9, v9, v10, v155 op_sel_hi:[1,0,1]
	v_pk_fma_f16 v2, v32, v10, v2 op_sel:[0,1,0]
	v_pk_fma_f16 v3, v33, v10, v3 op_sel:[0,1,0]
	v_pk_fma_f16 v4, v34, v10, v4 op_sel:[0,1,0]
	v_pk_fma_f16 v5, v35, v10, v5 op_sel:[0,1,0]
	v_pk_fma_f16 v6, v36, v10, v6 op_sel:[0,1,0]
	v_pk_fma_f16 v7, v37, v10, v7 op_sel:[0,1,0]
	v_pk_fma_f16 v8, v38, v10, v8 op_sel:[0,1,0]
	v_pk_fma_f16 v9, v39, v10, v9 op_sel:[0,1,0]
	v_pk_fma_f16 v2, v40, v11, v2 op_sel_hi:[1,0,1]
	v_pk_fma_f16 v3, v41, v11, v3 op_sel_hi:[1,0,1]
	v_pk_fma_f16 v4, v42, v11, v4 op_sel_hi:[1,0,1]
	v_pk_fma_f16 v5, v43, v11, v5 op_sel_hi:[1,0,1]
	v_pk_fma_f16 v6, v44, v11, v6 op_sel_hi:[1,0,1]
	v_pk_fma_f16 v7, v45, v11, v7 op_sel_hi:[1,0,1]
	v_pk_fma_f16 v8, v46, v11, v8 op_sel_hi:[1,0,1]
	v_pk_fma_f16 v9, v47, v11, v9 op_sel_hi:[1,0,1]
	v_pk_fma_f16 v2, v48, v11, v2 op_sel:[0,1,0]
	v_pk_fma_f16 v3, v49, v11, v3 op_sel:[0,1,0]
	v_pk_fma_f16 v4, v50, v11, v4 op_sel:[0,1,0]
	v_pk_fma_f16 v5, v51, v11, v5 op_sel:[0,1,0]
	v_pk_fma_f16 v6, v104, v11, v6 op_sel:[0,1,0]
	v_pk_fma_f16 v7, v105, v11, v7 op_sel:[0,1,0]
	v_pk_fma_f16 v8, v106, v11, v8 op_sel:[0,1,0]
	v_pk_fma_f16 v9, v107, v11, v9 op_sel:[0,1,0]
	;; [unrolled: 16-line block ×4, first 2 shown]
	s_waitcnt vmcnt(3)
	ds_write_b128 v92, v[140:143]
	s_waitcnt vmcnt(2)
	ds_write_b128 v93, v[144:147]
	;; [unrolled: 2-line block ×4, first 2 shown]
	s_waitcnt lgkmcnt(0)
	s_barrier
	ds_read2_b64 v[2:5], v96 offset1:32
	ds_read2_b64 v[6:9], v96 offset0:64 offset1:96
	ds_read_b128 v[10:13], v90 offset:32
	ds_read2_b64 v[32:35], v96 offset0:128 offset1:160
	ds_read2_b64 v[36:39], v96 offset0:192 offset1:224
	ds_read2_b64 v[40:43], v101 offset1:32
	ds_read2_b64 v[44:47], v101 offset0:64 offset1:96
	ds_read2_b64 v[48:51], v101 offset0:128 offset1:160
	ds_read2_b64 v[52:55], v101 offset0:192 offset1:224
	ds_read2_b64 v[104:107], v102 offset1:32
	ds_read2_b64 v[108:111], v102 offset0:64 offset1:96
	;; [unrolled: 4-line block ×3, first 2 shown]
	ds_read2_b64 v[128:131], v103 offset0:128 offset1:160
	ds_read2_b64 v[132:135], v103 offset0:192 offset1:224
	s_waitcnt lgkmcnt(0)
	s_barrier
	global_load_dwordx4 v[136:139], v[58:59], off
	global_load_dwordx4 v[140:143], v[58:59], off offset:512
	global_load_dwordx4 v[144:147], v[56:57], off
	s_nop 0
	global_load_dwordx4 v[56:59], v[56:57], off offset:512
	v_pk_fma_f16 v2, v2, v10, v14 op_sel_hi:[1,0,1]
	v_pk_fma_f16 v3, v3, v10, v15 op_sel_hi:[1,0,1]
	v_pk_fma_f16 v4, v4, v10, v152 op_sel_hi:[1,0,1]
	v_pk_fma_f16 v5, v5, v10, v153 op_sel_hi:[1,0,1]
	v_pk_fma_f16 v6, v6, v10, v154 op_sel_hi:[1,0,1]
	v_pk_fma_f16 v7, v7, v10, v155 op_sel_hi:[1,0,1]
	v_pk_fma_f16 v8, v8, v10, v156 op_sel_hi:[1,0,1]
	v_pk_fma_f16 v9, v9, v10, v157 op_sel_hi:[1,0,1]
	v_pk_fma_f16 v2, v32, v10, v2 op_sel:[0,1,0]
	v_pk_fma_f16 v3, v33, v10, v3 op_sel:[0,1,0]
	v_pk_fma_f16 v4, v34, v10, v4 op_sel:[0,1,0]
	v_pk_fma_f16 v5, v35, v10, v5 op_sel:[0,1,0]
	v_pk_fma_f16 v6, v36, v10, v6 op_sel:[0,1,0]
	v_pk_fma_f16 v7, v37, v10, v7 op_sel:[0,1,0]
	v_pk_fma_f16 v8, v38, v10, v8 op_sel:[0,1,0]
	v_pk_fma_f16 v9, v39, v10, v9 op_sel:[0,1,0]
	v_pk_fma_f16 v2, v40, v11, v2 op_sel_hi:[1,0,1]
	v_pk_fma_f16 v3, v41, v11, v3 op_sel_hi:[1,0,1]
	v_pk_fma_f16 v4, v42, v11, v4 op_sel_hi:[1,0,1]
	v_pk_fma_f16 v5, v43, v11, v5 op_sel_hi:[1,0,1]
	v_pk_fma_f16 v6, v44, v11, v6 op_sel_hi:[1,0,1]
	v_pk_fma_f16 v7, v45, v11, v7 op_sel_hi:[1,0,1]
	v_pk_fma_f16 v8, v46, v11, v8 op_sel_hi:[1,0,1]
	v_pk_fma_f16 v9, v47, v11, v9 op_sel_hi:[1,0,1]
	v_pk_fma_f16 v2, v48, v11, v2 op_sel:[0,1,0]
	v_pk_fma_f16 v3, v49, v11, v3 op_sel:[0,1,0]
	v_pk_fma_f16 v4, v50, v11, v4 op_sel:[0,1,0]
	v_pk_fma_f16 v5, v51, v11, v5 op_sel:[0,1,0]
	v_pk_fma_f16 v6, v52, v11, v6 op_sel:[0,1,0]
	v_pk_fma_f16 v7, v53, v11, v7 op_sel:[0,1,0]
	v_pk_fma_f16 v8, v54, v11, v8 op_sel:[0,1,0]
	v_pk_fma_f16 v9, v55, v11, v9 op_sel:[0,1,0]
	;; [unrolled: 16-line block ×4, first 2 shown]
	s_waitcnt vmcnt(3)
	ds_write_b128 v92, v[136:139]
	s_waitcnt vmcnt(2)
	ds_write_b128 v93, v[140:143]
	;; [unrolled: 2-line block ×4, first 2 shown]
	s_waitcnt lgkmcnt(0)
	s_barrier
	ds_read2_b64 v[2:5], v96 offset1:32
	ds_read2_b64 v[6:9], v96 offset0:64 offset1:96
	ds_read_b128 v[10:13], v90 offset:48
	ds_read2_b64 v[32:35], v96 offset0:128 offset1:160
	ds_read2_b64 v[36:39], v96 offset0:192 offset1:224
	ds_read2_b64 v[40:43], v101 offset1:32
	ds_read2_b64 v[44:47], v101 offset0:64 offset1:96
	ds_read2_b64 v[48:51], v101 offset0:128 offset1:160
	ds_read2_b64 v[52:55], v101 offset0:192 offset1:224
	ds_read2_b64 v[56:59], v102 offset1:32
	ds_read2_b64 v[104:107], v102 offset0:64 offset1:96
	;; [unrolled: 4-line block ×3, first 2 shown]
	ds_read2_b64 v[124:127], v103 offset0:128 offset1:160
	ds_read2_b64 v[128:131], v103 offset0:192 offset1:224
	s_waitcnt lgkmcnt(0)
	s_barrier
	global_load_dwordx4 v[132:135], v[62:63], off
	global_load_dwordx4 v[136:139], v[62:63], off offset:512
	global_load_dwordx4 v[140:143], v[60:61], off
	s_nop 0
	global_load_dwordx4 v[60:63], v[60:61], off offset:512
	v_pk_fma_f16 v2, v2, v10, v14 op_sel_hi:[1,0,1]
	v_pk_fma_f16 v3, v3, v10, v15 op_sel_hi:[1,0,1]
	v_pk_fma_f16 v4, v4, v10, v148 op_sel_hi:[1,0,1]
	v_pk_fma_f16 v5, v5, v10, v149 op_sel_hi:[1,0,1]
	v_pk_fma_f16 v6, v6, v10, v150 op_sel_hi:[1,0,1]
	v_pk_fma_f16 v7, v7, v10, v151 op_sel_hi:[1,0,1]
	v_pk_fma_f16 v8, v8, v10, v152 op_sel_hi:[1,0,1]
	v_pk_fma_f16 v9, v9, v10, v153 op_sel_hi:[1,0,1]
	v_pk_fma_f16 v2, v32, v10, v2 op_sel:[0,1,0]
	v_pk_fma_f16 v3, v33, v10, v3 op_sel:[0,1,0]
	v_pk_fma_f16 v4, v34, v10, v4 op_sel:[0,1,0]
	v_pk_fma_f16 v5, v35, v10, v5 op_sel:[0,1,0]
	v_pk_fma_f16 v6, v36, v10, v6 op_sel:[0,1,0]
	v_pk_fma_f16 v7, v37, v10, v7 op_sel:[0,1,0]
	v_pk_fma_f16 v8, v38, v10, v8 op_sel:[0,1,0]
	v_pk_fma_f16 v9, v39, v10, v9 op_sel:[0,1,0]
	v_pk_fma_f16 v2, v40, v11, v2 op_sel_hi:[1,0,1]
	v_pk_fma_f16 v3, v41, v11, v3 op_sel_hi:[1,0,1]
	v_pk_fma_f16 v4, v42, v11, v4 op_sel_hi:[1,0,1]
	v_pk_fma_f16 v5, v43, v11, v5 op_sel_hi:[1,0,1]
	v_pk_fma_f16 v6, v44, v11, v6 op_sel_hi:[1,0,1]
	v_pk_fma_f16 v7, v45, v11, v7 op_sel_hi:[1,0,1]
	v_pk_fma_f16 v8, v46, v11, v8 op_sel_hi:[1,0,1]
	v_pk_fma_f16 v9, v47, v11, v9 op_sel_hi:[1,0,1]
	v_pk_fma_f16 v2, v48, v11, v2 op_sel:[0,1,0]
	v_pk_fma_f16 v3, v49, v11, v3 op_sel:[0,1,0]
	v_pk_fma_f16 v4, v50, v11, v4 op_sel:[0,1,0]
	v_pk_fma_f16 v5, v51, v11, v5 op_sel:[0,1,0]
	v_pk_fma_f16 v6, v52, v11, v6 op_sel:[0,1,0]
	v_pk_fma_f16 v7, v53, v11, v7 op_sel:[0,1,0]
	v_pk_fma_f16 v8, v54, v11, v8 op_sel:[0,1,0]
	v_pk_fma_f16 v9, v55, v11, v9 op_sel:[0,1,0]
	;; [unrolled: 16-line block ×4, first 2 shown]
	s_waitcnt vmcnt(3)
	ds_write_b128 v92, v[132:135]
	s_waitcnt vmcnt(2)
	ds_write_b128 v93, v[136:139]
	;; [unrolled: 2-line block ×4, first 2 shown]
	s_waitcnt lgkmcnt(0)
	s_barrier
	ds_read2_b64 v[2:5], v96 offset1:32
	ds_read2_b64 v[6:9], v96 offset0:64 offset1:96
	ds_read_b128 v[10:13], v90 offset:64
	ds_read2_b64 v[32:35], v96 offset0:128 offset1:160
	ds_read2_b64 v[36:39], v96 offset0:192 offset1:224
	ds_read2_b64 v[40:43], v101 offset1:32
	ds_read2_b64 v[44:47], v101 offset0:64 offset1:96
	ds_read2_b64 v[48:51], v101 offset0:128 offset1:160
	ds_read2_b64 v[52:55], v101 offset0:192 offset1:224
	ds_read2_b64 v[56:59], v102 offset1:32
	ds_read2_b64 v[60:63], v102 offset0:64 offset1:96
	;; [unrolled: 4-line block ×3, first 2 shown]
	ds_read2_b64 v[120:123], v103 offset0:128 offset1:160
	ds_read2_b64 v[124:127], v103 offset0:192 offset1:224
	s_waitcnt lgkmcnt(0)
	s_barrier
	global_load_dwordx4 v[128:131], v[70:71], off
	global_load_dwordx4 v[132:135], v[70:71], off offset:512
	global_load_dwordx4 v[136:139], v[68:69], off
	s_nop 0
	global_load_dwordx4 v[68:71], v[68:69], off offset:512
	v_pk_fma_f16 v2, v2, v10, v14 op_sel_hi:[1,0,1]
	v_pk_fma_f16 v3, v3, v10, v15 op_sel_hi:[1,0,1]
	v_pk_fma_f16 v4, v4, v10, v144 op_sel_hi:[1,0,1]
	v_pk_fma_f16 v5, v5, v10, v145 op_sel_hi:[1,0,1]
	v_pk_fma_f16 v6, v6, v10, v146 op_sel_hi:[1,0,1]
	v_pk_fma_f16 v7, v7, v10, v147 op_sel_hi:[1,0,1]
	v_pk_fma_f16 v8, v8, v10, v148 op_sel_hi:[1,0,1]
	v_pk_fma_f16 v9, v9, v10, v149 op_sel_hi:[1,0,1]
	v_pk_fma_f16 v2, v32, v10, v2 op_sel:[0,1,0]
	v_pk_fma_f16 v3, v33, v10, v3 op_sel:[0,1,0]
	v_pk_fma_f16 v4, v34, v10, v4 op_sel:[0,1,0]
	v_pk_fma_f16 v5, v35, v10, v5 op_sel:[0,1,0]
	v_pk_fma_f16 v6, v36, v10, v6 op_sel:[0,1,0]
	v_pk_fma_f16 v7, v37, v10, v7 op_sel:[0,1,0]
	v_pk_fma_f16 v8, v38, v10, v8 op_sel:[0,1,0]
	v_pk_fma_f16 v9, v39, v10, v9 op_sel:[0,1,0]
	v_pk_fma_f16 v2, v40, v11, v2 op_sel_hi:[1,0,1]
	v_pk_fma_f16 v3, v41, v11, v3 op_sel_hi:[1,0,1]
	v_pk_fma_f16 v4, v42, v11, v4 op_sel_hi:[1,0,1]
	v_pk_fma_f16 v5, v43, v11, v5 op_sel_hi:[1,0,1]
	v_pk_fma_f16 v6, v44, v11, v6 op_sel_hi:[1,0,1]
	v_pk_fma_f16 v7, v45, v11, v7 op_sel_hi:[1,0,1]
	v_pk_fma_f16 v8, v46, v11, v8 op_sel_hi:[1,0,1]
	v_pk_fma_f16 v9, v47, v11, v9 op_sel_hi:[1,0,1]
	v_pk_fma_f16 v2, v48, v11, v2 op_sel:[0,1,0]
	v_pk_fma_f16 v3, v49, v11, v3 op_sel:[0,1,0]
	v_pk_fma_f16 v4, v50, v11, v4 op_sel:[0,1,0]
	v_pk_fma_f16 v5, v51, v11, v5 op_sel:[0,1,0]
	v_pk_fma_f16 v6, v52, v11, v6 op_sel:[0,1,0]
	v_pk_fma_f16 v7, v53, v11, v7 op_sel:[0,1,0]
	v_pk_fma_f16 v8, v54, v11, v8 op_sel:[0,1,0]
	v_pk_fma_f16 v9, v55, v11, v9 op_sel:[0,1,0]
	;; [unrolled: 16-line block ×4, first 2 shown]
	s_waitcnt vmcnt(3)
	ds_write_b128 v92, v[128:131]
	s_waitcnt vmcnt(2)
	ds_write_b128 v93, v[132:135]
	;; [unrolled: 2-line block ×4, first 2 shown]
	s_waitcnt lgkmcnt(0)
	s_barrier
	ds_read2_b64 v[2:5], v96 offset1:32
	ds_read2_b64 v[6:9], v96 offset0:64 offset1:96
	ds_read_b128 v[10:13], v90 offset:80
	ds_read2_b64 v[32:35], v96 offset0:128 offset1:160
	ds_read2_b64 v[36:39], v96 offset0:192 offset1:224
	ds_read2_b64 v[40:43], v101 offset1:32
	ds_read2_b64 v[44:47], v101 offset0:64 offset1:96
	ds_read2_b64 v[48:51], v101 offset0:128 offset1:160
	ds_read2_b64 v[52:55], v101 offset0:192 offset1:224
	ds_read2_b64 v[56:59], v102 offset1:32
	ds_read2_b64 v[60:63], v102 offset0:64 offset1:96
	ds_read2_b64 v[68:71], v102 offset0:128 offset1:160
	ds_read2_b64 v[104:107], v102 offset0:192 offset1:224
	ds_read2_b64 v[108:111], v103 offset1:32
	ds_read2_b64 v[112:115], v103 offset0:64 offset1:96
	ds_read2_b64 v[116:119], v103 offset0:128 offset1:160
	ds_read2_b64 v[120:123], v103 offset0:192 offset1:224
	s_waitcnt lgkmcnt(0)
	s_barrier
	global_load_dwordx4 v[124:127], v[74:75], off
	global_load_dwordx4 v[128:131], v[74:75], off offset:512
	global_load_dwordx4 v[132:135], v[72:73], off
	s_nop 0
	global_load_dwordx4 v[72:75], v[72:73], off offset:512
	v_pk_fma_f16 v2, v2, v10, v14 op_sel_hi:[1,0,1]
	v_pk_fma_f16 v3, v3, v10, v15 op_sel_hi:[1,0,1]
	v_pk_fma_f16 v4, v4, v10, v140 op_sel_hi:[1,0,1]
	v_pk_fma_f16 v5, v5, v10, v141 op_sel_hi:[1,0,1]
	v_pk_fma_f16 v6, v6, v10, v142 op_sel_hi:[1,0,1]
	v_pk_fma_f16 v7, v7, v10, v143 op_sel_hi:[1,0,1]
	v_pk_fma_f16 v8, v8, v10, v144 op_sel_hi:[1,0,1]
	v_pk_fma_f16 v9, v9, v10, v145 op_sel_hi:[1,0,1]
	v_pk_fma_f16 v2, v32, v10, v2 op_sel:[0,1,0]
	v_pk_fma_f16 v3, v33, v10, v3 op_sel:[0,1,0]
	v_pk_fma_f16 v4, v34, v10, v4 op_sel:[0,1,0]
	v_pk_fma_f16 v5, v35, v10, v5 op_sel:[0,1,0]
	v_pk_fma_f16 v6, v36, v10, v6 op_sel:[0,1,0]
	v_pk_fma_f16 v7, v37, v10, v7 op_sel:[0,1,0]
	v_pk_fma_f16 v8, v38, v10, v8 op_sel:[0,1,0]
	v_pk_fma_f16 v9, v39, v10, v9 op_sel:[0,1,0]
	v_pk_fma_f16 v2, v40, v11, v2 op_sel_hi:[1,0,1]
	v_pk_fma_f16 v3, v41, v11, v3 op_sel_hi:[1,0,1]
	v_pk_fma_f16 v4, v42, v11, v4 op_sel_hi:[1,0,1]
	v_pk_fma_f16 v5, v43, v11, v5 op_sel_hi:[1,0,1]
	v_pk_fma_f16 v6, v44, v11, v6 op_sel_hi:[1,0,1]
	v_pk_fma_f16 v7, v45, v11, v7 op_sel_hi:[1,0,1]
	v_pk_fma_f16 v8, v46, v11, v8 op_sel_hi:[1,0,1]
	v_pk_fma_f16 v9, v47, v11, v9 op_sel_hi:[1,0,1]
	v_pk_fma_f16 v2, v48, v11, v2 op_sel:[0,1,0]
	v_pk_fma_f16 v3, v49, v11, v3 op_sel:[0,1,0]
	v_pk_fma_f16 v4, v50, v11, v4 op_sel:[0,1,0]
	v_pk_fma_f16 v5, v51, v11, v5 op_sel:[0,1,0]
	v_pk_fma_f16 v6, v52, v11, v6 op_sel:[0,1,0]
	v_pk_fma_f16 v7, v53, v11, v7 op_sel:[0,1,0]
	v_pk_fma_f16 v8, v54, v11, v8 op_sel:[0,1,0]
	v_pk_fma_f16 v9, v55, v11, v9 op_sel:[0,1,0]
	;; [unrolled: 16-line block ×4, first 2 shown]
	s_waitcnt vmcnt(3)
	ds_write_b128 v92, v[124:127]
	s_waitcnt vmcnt(2)
	ds_write_b128 v93, v[128:131]
	;; [unrolled: 2-line block ×4, first 2 shown]
	s_waitcnt lgkmcnt(0)
	s_barrier
	ds_read2_b64 v[2:5], v96 offset1:32
	ds_read2_b64 v[6:9], v96 offset0:64 offset1:96
	ds_read_b128 v[10:13], v90 offset:96
	ds_read2_b64 v[32:35], v96 offset0:128 offset1:160
	ds_read2_b64 v[36:39], v96 offset0:192 offset1:224
	ds_read2_b64 v[40:43], v101 offset1:32
	ds_read2_b64 v[44:47], v101 offset0:64 offset1:96
	ds_read2_b64 v[48:51], v101 offset0:128 offset1:160
	ds_read2_b64 v[52:55], v101 offset0:192 offset1:224
	ds_read2_b64 v[56:59], v102 offset1:32
	ds_read2_b64 v[60:63], v102 offset0:64 offset1:96
	;; [unrolled: 4-line block ×3, first 2 shown]
	ds_read2_b64 v[112:115], v103 offset0:128 offset1:160
	ds_read2_b64 v[116:119], v103 offset0:192 offset1:224
	s_waitcnt lgkmcnt(0)
	s_barrier
	global_load_dwordx4 v[120:123], v[66:67], off
	global_load_dwordx4 v[124:127], v[66:67], off offset:512
	global_load_dwordx4 v[128:131], v[64:65], off
	s_nop 0
	global_load_dwordx4 v[64:67], v[64:65], off offset:512
	v_pk_fma_f16 v2, v2, v10, v14 op_sel_hi:[1,0,1]
	v_pk_fma_f16 v3, v3, v10, v15 op_sel_hi:[1,0,1]
	v_pk_fma_f16 v4, v4, v10, v136 op_sel_hi:[1,0,1]
	v_pk_fma_f16 v5, v5, v10, v137 op_sel_hi:[1,0,1]
	v_pk_fma_f16 v6, v6, v10, v138 op_sel_hi:[1,0,1]
	v_pk_fma_f16 v7, v7, v10, v139 op_sel_hi:[1,0,1]
	v_pk_fma_f16 v8, v8, v10, v140 op_sel_hi:[1,0,1]
	v_pk_fma_f16 v9, v9, v10, v141 op_sel_hi:[1,0,1]
	v_pk_fma_f16 v2, v32, v10, v2 op_sel:[0,1,0]
	v_pk_fma_f16 v3, v33, v10, v3 op_sel:[0,1,0]
	v_pk_fma_f16 v4, v34, v10, v4 op_sel:[0,1,0]
	v_pk_fma_f16 v5, v35, v10, v5 op_sel:[0,1,0]
	v_pk_fma_f16 v6, v36, v10, v6 op_sel:[0,1,0]
	v_pk_fma_f16 v7, v37, v10, v7 op_sel:[0,1,0]
	v_pk_fma_f16 v8, v38, v10, v8 op_sel:[0,1,0]
	v_pk_fma_f16 v9, v39, v10, v9 op_sel:[0,1,0]
	v_pk_fma_f16 v2, v40, v11, v2 op_sel_hi:[1,0,1]
	v_pk_fma_f16 v3, v41, v11, v3 op_sel_hi:[1,0,1]
	v_pk_fma_f16 v4, v42, v11, v4 op_sel_hi:[1,0,1]
	v_pk_fma_f16 v5, v43, v11, v5 op_sel_hi:[1,0,1]
	v_pk_fma_f16 v6, v44, v11, v6 op_sel_hi:[1,0,1]
	v_pk_fma_f16 v7, v45, v11, v7 op_sel_hi:[1,0,1]
	v_pk_fma_f16 v8, v46, v11, v8 op_sel_hi:[1,0,1]
	v_pk_fma_f16 v9, v47, v11, v9 op_sel_hi:[1,0,1]
	v_pk_fma_f16 v2, v48, v11, v2 op_sel:[0,1,0]
	v_pk_fma_f16 v3, v49, v11, v3 op_sel:[0,1,0]
	v_pk_fma_f16 v4, v50, v11, v4 op_sel:[0,1,0]
	v_pk_fma_f16 v5, v51, v11, v5 op_sel:[0,1,0]
	v_pk_fma_f16 v6, v52, v11, v6 op_sel:[0,1,0]
	v_pk_fma_f16 v7, v53, v11, v7 op_sel:[0,1,0]
	v_pk_fma_f16 v8, v54, v11, v8 op_sel:[0,1,0]
	v_pk_fma_f16 v9, v55, v11, v9 op_sel:[0,1,0]
	;; [unrolled: 16-line block ×4, first 2 shown]
	s_waitcnt vmcnt(3)
	ds_write_b128 v92, v[120:123]
	s_waitcnt vmcnt(2)
	ds_write_b128 v93, v[124:127]
	;; [unrolled: 2-line block ×4, first 2 shown]
	s_waitcnt lgkmcnt(0)
	s_barrier
	ds_read2_b64 v[2:5], v96 offset1:32
	ds_read2_b64 v[6:9], v96 offset0:64 offset1:96
	ds_read_b128 v[10:13], v90 offset:112
	ds_read2_b64 v[32:35], v96 offset0:128 offset1:160
	ds_read2_b64 v[36:39], v96 offset0:192 offset1:224
	ds_read2_b64 v[40:43], v101 offset1:32
	ds_read2_b64 v[44:47], v101 offset0:64 offset1:96
	ds_read2_b64 v[48:51], v101 offset0:128 offset1:160
	ds_read2_b64 v[52:55], v101 offset0:192 offset1:224
	ds_read2_b64 v[56:59], v102 offset1:32
	ds_read2_b64 v[60:63], v102 offset0:64 offset1:96
	;; [unrolled: 4-line block ×3, first 2 shown]
	ds_read2_b64 v[112:115], v103 offset0:128 offset1:160
	ds_read2_b64 v[116:119], v103 offset0:192 offset1:224
	s_waitcnt lgkmcnt(0)
	s_barrier
	s_load_dword s0, s[10:11], 0x4
	v_pk_fma_f16 v2, v2, v10, v14 op_sel_hi:[1,0,1]
	v_pk_fma_f16 v3, v3, v10, v15 op_sel_hi:[1,0,1]
	;; [unrolled: 1-line block ×8, first 2 shown]
	v_pk_fma_f16 v2, v32, v10, v2 op_sel:[0,1,0]
	v_pk_fma_f16 v3, v33, v10, v3 op_sel:[0,1,0]
	;; [unrolled: 1-line block ×8, first 2 shown]
	v_pk_fma_f16 v2, v40, v11, v2 op_sel_hi:[1,0,1]
	v_pk_fma_f16 v3, v41, v11, v3 op_sel_hi:[1,0,1]
	;; [unrolled: 1-line block ×8, first 2 shown]
	v_pk_fma_f16 v2, v48, v11, v2 op_sel:[0,1,0]
	v_pk_fma_f16 v3, v49, v11, v3 op_sel:[0,1,0]
	;; [unrolled: 1-line block ×8, first 2 shown]
	v_pk_fma_f16 v2, v56, v12, v2 op_sel_hi:[1,0,1]
	v_pk_fma_f16 v3, v57, v12, v3 op_sel_hi:[1,0,1]
	;; [unrolled: 1-line block ×8, first 2 shown]
	s_waitcnt lgkmcnt(0)
	s_lshl_b32 s0, s0, 6
	v_pk_fma_f16 v2, v64, v12, v2 op_sel:[0,1,0]
	v_pk_fma_f16 v3, v65, v12, v3 op_sel:[0,1,0]
	;; [unrolled: 1-line block ×8, first 2 shown]
	s_add_i32 s6, s0, s6
	v_pk_fma_f16 v2, v72, v13, v2 op_sel_hi:[1,0,1]
	v_pk_fma_f16 v3, v73, v13, v3 op_sel_hi:[1,0,1]
	;; [unrolled: 1-line block ×8, first 2 shown]
	s_cmp_lt_i32 s6, s28
	v_pk_fma_f16 v111, v112, v13, v2 op_sel:[0,1,0]
	v_pk_fma_f16 v110, v113, v13, v3 op_sel:[0,1,0]
	;; [unrolled: 1-line block ×8, first 2 shown]
	s_cbranch_scc1 .LBB23_9
.LBB23_10:
	v_cmp_lt_i32_e32 vcc, v83, v78
	v_cndmask_b32_e32 v2, v19, v83, vcc
	v_lshlrev_b32_e32 v2, 2, v2
	ds_bpermute_b32 v2, v2, v1
	v_cmp_lt_i32_e32 vcc, v82, v78
	v_cndmask_b32_e32 v3, v19, v82, vcc
	v_lshlrev_b32_e32 v3, 2, v3
	v_cmp_lt_i32_e32 vcc, v81, v78
	s_waitcnt lgkmcnt(0)
	v_add_f32_e32 v1, v1, v2
	ds_bpermute_b32 v2, v3, v1
	v_cndmask_b32_e32 v3, v19, v81, vcc
	v_lshlrev_b32_e32 v3, 2, v3
	v_cmp_lt_i32_e32 vcc, v80, v78
	s_cmp_eq_u64 s[16:17], 0
	s_waitcnt lgkmcnt(0)
	v_add_f32_e32 v1, v1, v2
	ds_bpermute_b32 v2, v3, v1
	v_cndmask_b32_e32 v3, v19, v80, vcc
	v_lshlrev_b32_e32 v3, 2, v3
	v_cmp_lt_i32_e32 vcc, v79, v78
	v_cndmask_b32_e32 v4, v19, v79, vcc
	s_waitcnt lgkmcnt(0)
	v_add_f32_e32 v1, v1, v2
	ds_bpermute_b32 v3, v3, v1
	v_lshlrev_b32_e32 v4, 2, v4
	s_cselect_b64 s[0:1], -1, 0
	s_cmp_lg_u32 s7, 0
	s_cselect_b64 s[2:3], -1, 0
	s_waitcnt lgkmcnt(0)
	v_add_f32_e32 v1, v1, v3
	ds_bpermute_b32 v3, v4, v1
	s_or_b64 s[0:1], s[2:3], s[0:1]
	v_add_u32_e32 v2, s29, v76
	s_and_b64 vcc, exec, s[0:1]
	s_waitcnt lgkmcnt(0)
	v_add_f32_e32 v1, v1, v3
	s_cbranch_vccnz .LBB23_12
; %bb.11:
	v_ashrrev_i32_e32 v3, 31, v2
	v_lshlrev_b64 v[4:5], 2, v[2:3]
	v_mov_b32_e32 v3, s17
	v_add_co_u32_e32 v4, vcc, s16, v4
	v_addc_co_u32_e32 v5, vcc, v3, v5, vcc
	global_load_dword v3, v[4:5], off
	v_max_f32_e32 v4, v0, v0
	s_mov_b32 s0, 0x3fb8aa3b
	s_mov_b32 s1, 0xc2ce8ed0
	s_waitcnt vmcnt(0)
	v_max_f32_e32 v5, v3, v3
	v_max_f32_e32 v4, v4, v5
	v_sub_f32_e32 v0, v0, v4
	v_sub_f32_e32 v3, v3, v4
	v_mul_f32_e32 v5, 0x3fb8aa3b, v0
	v_mul_f32_e32 v6, 0x3fb8aa3b, v3
	v_fma_f32 v7, v0, s0, -v5
	v_rndne_f32_e32 v8, v5
	v_fma_f32 v9, v3, s0, -v6
	v_rndne_f32_e32 v10, v6
	v_fmac_f32_e32 v7, 0x32a5705f, v0
	v_sub_f32_e32 v5, v5, v8
	v_fmac_f32_e32 v9, 0x32a5705f, v3
	v_sub_f32_e32 v6, v6, v10
	v_add_f32_e32 v5, v5, v7
	v_cvt_i32_f32_e32 v8, v8
	v_add_f32_e32 v6, v6, v9
	v_exp_f32_e32 v5, v5
	v_cvt_i32_f32_e32 v10, v10
	v_exp_f32_e32 v6, v6
	v_cmp_ngt_f32_e32 vcc, s1, v0
	v_ldexp_f32 v5, v5, v8
	s_mov_b32 s0, 0x42b17218
	v_ldexp_f32 v6, v6, v10
	v_cndmask_b32_e32 v5, 0, v5, vcc
	v_cmp_ngt_f32_e32 vcc, s1, v3
	v_mov_b32_e32 v7, 0x7f800000
	v_cndmask_b32_e32 v6, 0, v6, vcc
	v_cmp_nlt_f32_e32 vcc, s0, v0
	v_cndmask_b32_e32 v0, v7, v5, vcc
	v_cvt_f16_f32_e32 v8, v0
	v_cmp_nlt_f32_e32 vcc, s0, v3
	v_cndmask_b32_e32 v5, v7, v6, vcc
	v_fmac_f32_e32 v5, v1, v0
	v_pk_mul_f16 v111, v8, v111 op_sel_hi:[0,1]
	v_pk_mul_f16 v110, v8, v110 op_sel_hi:[0,1]
	;; [unrolled: 1-line block ×8, first 2 shown]
	v_pk_mov_b32 v[0:1], v[4:5], v[4:5] op_sel:[0,1]
	s_branch .LBB23_13
.LBB23_12:
	v_mov_b32_e32 v5, v1
.LBB23_13:
	v_div_scale_f32 v3, s[0:1], v5, v5, 1.0
	v_rcp_f32_e32 v4, v3
	s_load_dword s4, s[4:5], 0xd4
	s_mul_i32 s33, s33, s26
	v_cvt_f32_f16_sdwa v13, v110 dst_sel:DWORD dst_unused:UNUSED_PAD src0_sel:WORD_1
	v_fma_f32 v6, -v3, v4, 1.0
	v_fmac_f32_e32 v4, v6, v4
	v_div_scale_f32 v6, vcc, 1.0, v5, 1.0
	v_mul_f32_e32 v7, v6, v4
	v_fma_f32 v8, -v3, v7, v6
	v_fmac_f32_e32 v7, v8, v4
	v_fma_f32 v3, -v3, v7, v6
	s_waitcnt lgkmcnt(0)
	s_cmp_lg_u32 s4, 1
	v_div_fmas_f32 v3, v3, v4, v7
	v_div_fixup_f32 v3, v3, v5, 1.0
	s_cselect_b64 s[0:1], -1, 0
	v_cndmask_b32_e64 v8, v3, 1.0, s[0:1]
	v_add_u32_e32 v3, s33, v17
	v_mad_u64_u32 v[2:3], s[2:3], v3, s27, v[2:3]
	v_mul_lo_u32 v2, s4, v2
	v_add_u32_e32 v2, s7, v2
	v_cvt_f32_f16_sdwa v7, v111 dst_sel:DWORD dst_unused:UNUSED_PAD src0_sel:WORD_1
	v_cvt_f32_f16_e32 v6, v111
	v_cvt_f32_f16_e32 v12, v110
	v_lshl_add_u32 v10, v2, 9, v77
	v_mov_b32_e32 v11, 0
	v_lshlrev_b64 v[4:5], 2, v[10:11]
	v_mov_b32_e32 v3, s21
	v_add_co_u32_e32 v14, vcc, s20, v4
	v_addc_co_u32_e32 v15, vcc, v3, v5, vcc
	v_pk_mul_f32 v[4:5], v[8:9], v[6:7] op_sel_hi:[0,1]
	v_pk_mul_f32 v[6:7], v[8:9], v[12:13] op_sel_hi:[0,1]
	global_store_dwordx4 v[14:15], v[4:7], off
	v_cvt_f32_f16_sdwa v13, v108 dst_sel:DWORD dst_unused:UNUSED_PAD src0_sel:WORD_1
	v_cvt_f32_f16_sdwa v7, v109 dst_sel:DWORD dst_unused:UNUSED_PAD src0_sel:WORD_1
	v_cvt_f32_f16_e32 v6, v109
	v_cvt_f32_f16_e32 v12, v108
	v_add_u32_e32 v4, 0x80, v10
	v_mov_b32_e32 v5, v11
	v_lshlrev_b64 v[4:5], 2, v[4:5]
	v_add_co_u32_e32 v14, vcc, s20, v4
	v_addc_co_u32_e32 v15, vcc, v3, v5, vcc
	v_pk_mul_f32 v[4:5], v[8:9], v[6:7] op_sel_hi:[0,1]
	v_pk_mul_f32 v[6:7], v[8:9], v[12:13] op_sel_hi:[0,1]
	global_store_dwordx4 v[14:15], v[4:7], off
	v_cvt_f32_f16_sdwa v13, v106 dst_sel:DWORD dst_unused:UNUSED_PAD src0_sel:WORD_1
	v_cvt_f32_f16_sdwa v7, v107 dst_sel:DWORD dst_unused:UNUSED_PAD src0_sel:WORD_1
	v_cvt_f32_f16_e32 v6, v107
	v_cvt_f32_f16_e32 v12, v106
	v_add_u32_e32 v4, 0x100, v10
	v_mov_b32_e32 v5, v11
	v_lshlrev_b64 v[4:5], 2, v[4:5]
	v_add_co_u32_e32 v14, vcc, s20, v4
	v_addc_co_u32_e32 v15, vcc, v3, v5, vcc
	v_pk_mul_f32 v[4:5], v[8:9], v[6:7] op_sel_hi:[0,1]
	v_pk_mul_f32 v[6:7], v[8:9], v[12:13] op_sel_hi:[0,1]
	v_add_u32_e32 v10, 0x180, v10
	global_store_dwordx4 v[14:15], v[4:7], off
	s_nop 0
	v_lshlrev_b64 v[4:5], 2, v[10:11]
	v_cvt_f32_f16_sdwa v7, v105 dst_sel:DWORD dst_unused:UNUSED_PAD src0_sel:WORD_1
	v_cvt_f32_f16_e32 v6, v105
	v_cvt_f32_f16_sdwa v11, v104 dst_sel:DWORD dst_unused:UNUSED_PAD src0_sel:WORD_1
	v_cvt_f32_f16_e32 v10, v104
	v_add_co_u32_e32 v12, vcc, s20, v4
	v_addc_co_u32_e32 v13, vcc, v3, v5, vcc
	v_cmp_eq_u32_e32 vcc, 0, v16
	v_pk_mul_f32 v[4:5], v[8:9], v[6:7] op_sel_hi:[0,1]
	v_pk_mul_f32 v[6:7], v[8:9], v[10:11] op_sel_hi:[0,1]
	s_and_b64 s[0:1], vcc, s[0:1]
	global_store_dwordx4 v[12:13], v[4:7], off
	s_and_saveexec_b64 s[2:3], s[0:1]
	s_cbranch_execz .LBB23_15
; %bb.14:
	v_ashrrev_i32_e32 v3, 31, v2
	v_lshlrev_b64 v[2:3], 3, v[2:3]
	v_mov_b32_e32 v4, s23
	v_add_co_u32_e32 v2, vcc, s22, v2
	v_addc_co_u32_e32 v3, vcc, v4, v3, vcc
	global_store_dwordx2 v[2:3], v[0:1], off
.LBB23_15:
	s_endpgm
	.section	.rodata,"a",@progbits
	.p2align	6, 0x0
	.amdhsa_kernel _ZL15flash_attn_tileILi512ELi512ELi1ELi4ELb0EEvPKcS1_S1_S1_S1_PKiPfP15HIP_vector_typeIfLj2EEffffjfiS5_IjLj3EEiiiiiiiiiiiliiliiiiil
		.amdhsa_group_segment_fixed_size 13824
		.amdhsa_private_segment_fixed_size 0
		.amdhsa_kernarg_size 464
		.amdhsa_user_sgpr_count 6
		.amdhsa_user_sgpr_private_segment_buffer 1
		.amdhsa_user_sgpr_dispatch_ptr 0
		.amdhsa_user_sgpr_queue_ptr 0
		.amdhsa_user_sgpr_kernarg_segment_ptr 1
		.amdhsa_user_sgpr_dispatch_id 0
		.amdhsa_user_sgpr_flat_scratch_init 0
		.amdhsa_user_sgpr_kernarg_preload_length 0
		.amdhsa_user_sgpr_kernarg_preload_offset 0
		.amdhsa_user_sgpr_private_segment_size 0
		.amdhsa_uses_dynamic_stack 0
		.amdhsa_system_sgpr_private_segment_wavefront_offset 0
		.amdhsa_system_sgpr_workgroup_id_x 1
		.amdhsa_system_sgpr_workgroup_id_y 1
		.amdhsa_system_sgpr_workgroup_id_z 1
		.amdhsa_system_sgpr_workgroup_info 0
		.amdhsa_system_vgpr_workitem_id 1
		.amdhsa_next_free_vgpr 166
		.amdhsa_next_free_sgpr 44
		.amdhsa_accum_offset 168
		.amdhsa_reserve_vcc 1
		.amdhsa_reserve_flat_scratch 0
		.amdhsa_float_round_mode_32 0
		.amdhsa_float_round_mode_16_64 0
		.amdhsa_float_denorm_mode_32 3
		.amdhsa_float_denorm_mode_16_64 3
		.amdhsa_dx10_clamp 1
		.amdhsa_ieee_mode 1
		.amdhsa_fp16_overflow 0
		.amdhsa_tg_split 0
		.amdhsa_exception_fp_ieee_invalid_op 0
		.amdhsa_exception_fp_denorm_src 0
		.amdhsa_exception_fp_ieee_div_zero 0
		.amdhsa_exception_fp_ieee_overflow 0
		.amdhsa_exception_fp_ieee_underflow 0
		.amdhsa_exception_fp_ieee_inexact 0
		.amdhsa_exception_int_div_zero 0
	.end_amdhsa_kernel
	.section	.text._ZL15flash_attn_tileILi512ELi512ELi1ELi4ELb0EEvPKcS1_S1_S1_S1_PKiPfP15HIP_vector_typeIfLj2EEffffjfiS5_IjLj3EEiiiiiiiiiiiliiliiiiil,"axG",@progbits,_ZL15flash_attn_tileILi512ELi512ELi1ELi4ELb0EEvPKcS1_S1_S1_S1_PKiPfP15HIP_vector_typeIfLj2EEffffjfiS5_IjLj3EEiiiiiiiiiiiliiliiiiil,comdat
.Lfunc_end23:
	.size	_ZL15flash_attn_tileILi512ELi512ELi1ELi4ELb0EEvPKcS1_S1_S1_S1_PKiPfP15HIP_vector_typeIfLj2EEffffjfiS5_IjLj3EEiiiiiiiiiiiliiliiiiil, .Lfunc_end23-_ZL15flash_attn_tileILi512ELi512ELi1ELi4ELb0EEvPKcS1_S1_S1_S1_PKiPfP15HIP_vector_typeIfLj2EEffffjfiS5_IjLj3EEiiiiiiiiiiiliiliiiiil
                                        ; -- End function
	.section	.AMDGPU.csdata,"",@progbits
; Kernel info:
; codeLenInByte = 17060
; NumSgprs: 48
; NumVgprs: 166
; NumAgprs: 0
; TotalNumVgprs: 166
; ScratchSize: 0
; MemoryBound: 0
; FloatMode: 240
; IeeeMode: 1
; LDSByteSize: 13824 bytes/workgroup (compile time only)
; SGPRBlocks: 5
; VGPRBlocks: 20
; NumSGPRsForWavesPerEU: 48
; NumVGPRsForWavesPerEU: 166
; AccumOffset: 168
; Occupancy: 2
; WaveLimiterHint : 1
; COMPUTE_PGM_RSRC2:SCRATCH_EN: 0
; COMPUTE_PGM_RSRC2:USER_SGPR: 6
; COMPUTE_PGM_RSRC2:TRAP_HANDLER: 0
; COMPUTE_PGM_RSRC2:TGID_X_EN: 1
; COMPUTE_PGM_RSRC2:TGID_Y_EN: 1
; COMPUTE_PGM_RSRC2:TGID_Z_EN: 1
; COMPUTE_PGM_RSRC2:TIDIG_COMP_CNT: 1
; COMPUTE_PGM_RSRC3_GFX90A:ACCUM_OFFSET: 41
; COMPUTE_PGM_RSRC3_GFX90A:TG_SPLIT: 0
	.section	.text._ZL33flash_attn_stream_k_fixup_uniformILi512ELi1ELi4EEvPfPK15HIP_vector_typeIfLj2EEiiiiiiS1_IjLj3EES5_S5_,"axG",@progbits,_ZL33flash_attn_stream_k_fixup_uniformILi512ELi1ELi4EEvPfPK15HIP_vector_typeIfLj2EEiiiiiiS1_IjLj3EES5_S5_,comdat
	.globl	_ZL33flash_attn_stream_k_fixup_uniformILi512ELi1ELi4EEvPfPK15HIP_vector_typeIfLj2EEiiiiiiS1_IjLj3EES5_S5_ ; -- Begin function _ZL33flash_attn_stream_k_fixup_uniformILi512ELi1ELi4EEvPfPK15HIP_vector_typeIfLj2EEiiiiiiS1_IjLj3EES5_S5_
	.p2align	8
	.type	_ZL33flash_attn_stream_k_fixup_uniformILi512ELi1ELi4EEvPfPK15HIP_vector_typeIfLj2EEiiiiiiS1_IjLj3EES5_S5_,@function
_ZL33flash_attn_stream_k_fixup_uniformILi512ELi1ELi4EEvPfPK15HIP_vector_typeIfLj2EEiiiiiiS1_IjLj3EES5_S5_: ; @_ZL33flash_attn_stream_k_fixup_uniformILi512ELi1ELi4EEvPfPK15HIP_vector_typeIfLj2EEiiiiiiS1_IjLj3EES5_S5_
; %bb.0:
	s_load_dwordx8 s[12:19], s[4:5], 0x1c
	s_load_dwordx2 s[10:11], s[4:5], 0x10
	s_load_dwordx4 s[0:3], s[4:5], 0x3c
	s_waitcnt lgkmcnt(0)
	s_mul_hi_u32 s9, s15, s6
	s_add_i32 s9, s6, s9
	s_lshr_b32 s9, s9, s16
	s_mul_i32 s15, s9, s17
	s_sub_i32 s16, s6, s15
	s_mul_hi_u32 s15, s16, s18
	s_add_i32 s15, s16, s15
	s_lshr_b32 s15, s15, s19
	s_mul_i32 s0, s15, s0
	s_sub_i32 s0, s16, s0
	;; [unrolled: 5-line block ×3, first 2 shown]
	s_lshl_b32 s17, s1, 2
	s_add_i32 s16, s16, s7
	s_cmp_lt_i32 s16, s10
	s_cselect_b64 s[0:1], -1, 0
	s_add_i32 s17, s17, s8
	s_cmp_lt_i32 s17, s13
	s_cselect_b64 s[2:3], -1, 0
	s_and_b64 s[0:1], s[0:1], s[2:3]
	s_andn2_b64 vcc, exec, s[0:1]
	s_cbranch_vccnz .LBB24_6
; %bb.1:
	s_mul_i32 s9, s9, s10
	s_load_dwordx4 s[0:3], s[4:5], 0x0
	s_mul_i32 s15, s15, s13
	s_add_i32 s4, s16, s9
	s_mul_i32 s4, s4, s11
	s_add_i32 s5, s17, s15
	s_add_i32 s5, s5, s4
	v_lshl_or_b32 v2, s5, 9, v0
	v_ashrrev_i32_e32 v3, 31, v2
	v_lshlrev_b64 v[2:3], 2, v[2:3]
	s_waitcnt lgkmcnt(0)
	v_mov_b32_e32 v1, s1
	v_add_co_u32_e32 v2, vcc, s0, v2
	v_addc_co_u32_e32 v3, vcc, v1, v3, vcc
	global_load_dword v8, v[2:3], off
	s_mul_i32 s9, s6, s14
	s_add_i32 s4, s9, s14
	s_add_i32 s0, s7, s4
	s_lshl_b32 s0, s0, 2
	s_add_i32 s0, s0, s8
	s_add_i32 s0, s0, -4
	s_ashr_i32 s1, s0, 31
	s_lshl_b64 s[0:1], s[0:1], 3
	s_add_u32 s0, s2, s0
	s_addc_u32 s1, s3, s1
	s_load_dword s5, s[0:1], 0x4
	s_add_i32 s10, s4, -2
	s_cmp_lt_i32 s10, s9
	s_cbranch_scc1 .LBB24_4
; %bb.2:
	s_lshl_b32 s10, s12, 4
	s_ashr_i32 s11, s10, 31
	s_lshl_b64 s[10:11], s[10:11], 2
	s_add_u32 s10, s2, s10
	s_addc_u32 s13, s3, s11
	s_load_dword s0, s[0:1], 0x0
	s_add_i32 s6, s6, 1
	s_lshl_b32 s1, s8, 9
	s_add_i32 s12, s7, s12
	s_mul_i32 s6, s14, s6
	s_lshl_b32 s7, s7, 11
	s_add_i32 s12, s12, s4
	s_lshl_b32 s6, s6, 11
	s_add_i32 s1, s1, s7
	s_add_i32 s11, s4, -1
	s_lshl_b32 s4, s12, 2
	s_add_i32 s1, s1, s6
	s_add_i32 s4, s8, s4
	v_or_b32_e32 v0, s1, v0
	s_add_i32 s4, s4, -8
	v_add_u32_e32 v0, 0xfffff000, v0
	s_waitcnt lgkmcnt(0)
	v_mov_b32_e32 v7, s5
	v_mov_b32_e32 v6, s0
	;; [unrolled: 1-line block ×3, first 2 shown]
	s_mov_b32 s6, 0x3fb8aa3b
	s_mov_b32 s7, 0xc2ce8ed0
	;; [unrolled: 1-line block ×3, first 2 shown]
	v_mov_b32_e32 v5, 0x7f800000
	s_mov_b32 s12, 0xc1a00000
.LBB24_3:                               ; =>This Inner Loop Header: Depth=1
	v_ashrrev_i32_e32 v1, 31, v0
	v_lshlrev_b64 v[10:11], 2, v[0:1]
	v_add_co_u32_e32 v10, vcc, s10, v10
	v_addc_co_u32_e32 v11, vcc, v4, v11, vcc
	global_load_dword v1, v[10:11], off
	s_ashr_i32 s5, s4, 31
	s_lshl_b64 s[0:1], s[4:5], 3
	s_add_u32 s0, s2, s0
	s_addc_u32 s1, s3, s1
	s_load_dwordx2 s[14:15], s[0:1], 0x0
	s_waitcnt vmcnt(1)
	v_mov_b32_e32 v9, v8
	v_max_f32_e32 v8, v6, v6
	v_mov_b32_e32 v10, v7
	s_add_i32 s11, s11, -1
	s_waitcnt lgkmcnt(0)
	v_max_f32_e64 v7, s14, s14
	v_max_f32_e32 v7, v8, v7
	v_sub_f32_e32 v11, s14, v7
	v_sub_f32_e32 v8, v6, v7
	v_mul_f32_e32 v12, 0x3fb8aa3b, v11
	v_mov_b32_e32 v6, v7
	v_mul_f32_e32 v7, 0x3fb8aa3b, v8
	v_fma_f32 v15, v11, s6, -v12
	v_rndne_f32_e32 v16, v12
	v_fma_f32 v13, v8, s6, -v7
	v_rndne_f32_e32 v14, v7
	v_fmac_f32_e32 v15, 0x32a5705f, v11
	v_sub_f32_e32 v12, v12, v16
	v_fmac_f32_e32 v13, 0x32a5705f, v8
	v_sub_f32_e32 v7, v7, v14
	v_add_f32_e32 v12, v12, v15
	v_cvt_i32_f32_e32 v16, v16
	v_add_f32_e32 v7, v7, v13
	v_exp_f32_e32 v12, v12
	v_cvt_i32_f32_e32 v14, v14
	v_exp_f32_e32 v7, v7
	v_cmp_ngt_f32_e32 vcc, s7, v11
	v_ldexp_f32 v12, v12, v16
	v_cmp_ngt_f32_e64 s[0:1], s7, v8
	v_ldexp_f32 v7, v7, v14
	v_cndmask_b32_e32 v12, 0, v12, vcc
	v_cmp_nlt_f32_e32 vcc, s8, v11
	v_cndmask_b32_e64 v7, 0, v7, s[0:1]
	v_cmp_nlt_f32_e64 s[0:1], s8, v8
	v_cndmask_b32_e32 v12, v5, v12, vcc
	v_cmp_le_f32_e32 vcc, s12, v11
	v_cndmask_b32_e64 v7, v5, v7, s[0:1]
	v_cmp_le_f32_e64 s[0:1], s12, v8
	v_cndmask_b32_e32 v8, 0, v12, vcc
	s_add_i32 s4, s4, -4
	v_cndmask_b32_e64 v11, 0, v7, s[0:1]
	v_mul_f32_e32 v7, s15, v8
	v_add_u32_e32 v0, 0xfffff800, v0
	s_cmp_le_i32 s11, s9
	v_fmac_f32_e32 v7, v10, v11
	s_waitcnt vmcnt(0)
	v_mul_f32_e32 v8, v1, v8
	v_fmac_f32_e32 v8, v9, v11
	s_cbranch_scc0 .LBB24_3
	s_branch .LBB24_5
.LBB24_4:
	s_waitcnt lgkmcnt(0)
	v_mov_b32_e32 v7, s5
.LBB24_5:
	s_waitcnt vmcnt(0)
	v_div_scale_f32 v0, s[0:1], v7, v7, v8
	v_rcp_f32_e32 v1, v0
	v_div_scale_f32 v4, vcc, v8, v7, v8
	v_fma_f32 v5, -v0, v1, 1.0
	v_fmac_f32_e32 v1, v5, v1
	v_mul_f32_e32 v5, v4, v1
	v_fma_f32 v6, -v0, v5, v4
	v_fmac_f32_e32 v5, v6, v1
	v_fma_f32 v0, -v0, v5, v4
	v_div_fmas_f32 v0, v0, v1, v5
	v_div_fixup_f32 v0, v0, v7, v8
	global_store_dword v[2:3], v0, off
.LBB24_6:
	s_endpgm
	.section	.rodata,"a",@progbits
	.p2align	6, 0x0
	.amdhsa_kernel _ZL33flash_attn_stream_k_fixup_uniformILi512ELi1ELi4EEvPfPK15HIP_vector_typeIfLj2EEiiiiiiS1_IjLj3EES5_S5_
		.amdhsa_group_segment_fixed_size 0
		.amdhsa_private_segment_fixed_size 0
		.amdhsa_kernarg_size 76
		.amdhsa_user_sgpr_count 6
		.amdhsa_user_sgpr_private_segment_buffer 1
		.amdhsa_user_sgpr_dispatch_ptr 0
		.amdhsa_user_sgpr_queue_ptr 0
		.amdhsa_user_sgpr_kernarg_segment_ptr 1
		.amdhsa_user_sgpr_dispatch_id 0
		.amdhsa_user_sgpr_flat_scratch_init 0
		.amdhsa_user_sgpr_kernarg_preload_length 0
		.amdhsa_user_sgpr_kernarg_preload_offset 0
		.amdhsa_user_sgpr_private_segment_size 0
		.amdhsa_uses_dynamic_stack 0
		.amdhsa_system_sgpr_private_segment_wavefront_offset 0
		.amdhsa_system_sgpr_workgroup_id_x 1
		.amdhsa_system_sgpr_workgroup_id_y 1
		.amdhsa_system_sgpr_workgroup_id_z 1
		.amdhsa_system_sgpr_workgroup_info 0
		.amdhsa_system_vgpr_workitem_id 0
		.amdhsa_next_free_vgpr 17
		.amdhsa_next_free_sgpr 20
		.amdhsa_accum_offset 20
		.amdhsa_reserve_vcc 1
		.amdhsa_reserve_flat_scratch 0
		.amdhsa_float_round_mode_32 0
		.amdhsa_float_round_mode_16_64 0
		.amdhsa_float_denorm_mode_32 3
		.amdhsa_float_denorm_mode_16_64 3
		.amdhsa_dx10_clamp 1
		.amdhsa_ieee_mode 1
		.amdhsa_fp16_overflow 0
		.amdhsa_tg_split 0
		.amdhsa_exception_fp_ieee_invalid_op 0
		.amdhsa_exception_fp_denorm_src 0
		.amdhsa_exception_fp_ieee_div_zero 0
		.amdhsa_exception_fp_ieee_overflow 0
		.amdhsa_exception_fp_ieee_underflow 0
		.amdhsa_exception_fp_ieee_inexact 0
		.amdhsa_exception_int_div_zero 0
	.end_amdhsa_kernel
	.section	.text._ZL33flash_attn_stream_k_fixup_uniformILi512ELi1ELi4EEvPfPK15HIP_vector_typeIfLj2EEiiiiiiS1_IjLj3EES5_S5_,"axG",@progbits,_ZL33flash_attn_stream_k_fixup_uniformILi512ELi1ELi4EEvPfPK15HIP_vector_typeIfLj2EEiiiiiiS1_IjLj3EES5_S5_,comdat
.Lfunc_end24:
	.size	_ZL33flash_attn_stream_k_fixup_uniformILi512ELi1ELi4EEvPfPK15HIP_vector_typeIfLj2EEiiiiiiS1_IjLj3EES5_S5_, .Lfunc_end24-_ZL33flash_attn_stream_k_fixup_uniformILi512ELi1ELi4EEvPfPK15HIP_vector_typeIfLj2EEiiiiiiS1_IjLj3EES5_S5_
                                        ; -- End function
	.section	.AMDGPU.csdata,"",@progbits
; Kernel info:
; codeLenInByte = 828
; NumSgprs: 24
; NumVgprs: 17
; NumAgprs: 0
; TotalNumVgprs: 17
; ScratchSize: 0
; MemoryBound: 0
; FloatMode: 240
; IeeeMode: 1
; LDSByteSize: 0 bytes/workgroup (compile time only)
; SGPRBlocks: 2
; VGPRBlocks: 2
; NumSGPRsForWavesPerEU: 24
; NumVGPRsForWavesPerEU: 17
; AccumOffset: 20
; Occupancy: 8
; WaveLimiterHint : 0
; COMPUTE_PGM_RSRC2:SCRATCH_EN: 0
; COMPUTE_PGM_RSRC2:USER_SGPR: 6
; COMPUTE_PGM_RSRC2:TRAP_HANDLER: 0
; COMPUTE_PGM_RSRC2:TGID_X_EN: 1
; COMPUTE_PGM_RSRC2:TGID_Y_EN: 1
; COMPUTE_PGM_RSRC2:TGID_Z_EN: 1
; COMPUTE_PGM_RSRC2:TIDIG_COMP_CNT: 0
; COMPUTE_PGM_RSRC3_GFX90A:ACCUM_OFFSET: 4
; COMPUTE_PGM_RSRC3_GFX90A:TG_SPLIT: 0
	.section	.text._ZL33flash_attn_stream_k_fixup_generalILi512ELi1ELi4EEvPfPK15HIP_vector_typeIfLj2EEiiiiS1_IjLj3EES5_S5_S5_,"axG",@progbits,_ZL33flash_attn_stream_k_fixup_generalILi512ELi1ELi4EEvPfPK15HIP_vector_typeIfLj2EEiiiiS1_IjLj3EES5_S5_S5_,comdat
	.globl	_ZL33flash_attn_stream_k_fixup_generalILi512ELi1ELi4EEvPfPK15HIP_vector_typeIfLj2EEiiiiS1_IjLj3EES5_S5_S5_ ; -- Begin function _ZL33flash_attn_stream_k_fixup_generalILi512ELi1ELi4EEvPfPK15HIP_vector_typeIfLj2EEiiiiS1_IjLj3EES5_S5_S5_
	.p2align	8
	.type	_ZL33flash_attn_stream_k_fixup_generalILi512ELi1ELi4EEvPfPK15HIP_vector_typeIfLj2EEiiiiS1_IjLj3EES5_S5_S5_,@function
_ZL33flash_attn_stream_k_fixup_generalILi512ELi1ELi4EEvPfPK15HIP_vector_typeIfLj2EEiiiiS1_IjLj3EES5_S5_S5_: ; @_ZL33flash_attn_stream_k_fixup_generalILi512ELi1ELi4EEvPfPK15HIP_vector_typeIfLj2EEiiiiS1_IjLj3EES5_S5_S5_
; %bb.0:
	s_load_dwordx4 s[12:15], s[4:5], 0x10
	s_load_dword s9, s[4:5], 0x50
	s_mov_b32 s2, 0
	s_waitcnt lgkmcnt(0)
	s_mul_hi_i32 s3, s15, s6
	s_cmp_lg_u64 s[2:3], 0
	s_mul_i32 s2, s15, s6
	s_cbranch_scc0 .LBB25_21
; %bb.1:
	v_cvt_f32_u32_e32 v1, s9
	v_cvt_f32_ubyte0_e32 v2, 0
	s_sub_u32 s10, 0, s9
	s_subb_u32 s11, 0, 0
	v_madmk_f32 v1, v2, 0x4f800000, v1
	v_rcp_f32_e32 v1, v1
	v_mul_f32_e32 v1, 0x5f7ffffc, v1
	v_mul_f32_e32 v2, 0x2f800000, v1
	v_trunc_f32_e32 v2, v2
	v_madmk_f32 v1, v2, 0xcf800000, v1
	v_cvt_u32_f32_e32 v2, v2
	v_cvt_u32_f32_e32 v1, v1
	v_readfirstlane_b32 s16, v2
	v_readfirstlane_b32 s17, v1
	s_mul_i32 s18, s10, s16
	s_mul_hi_u32 s20, s10, s17
	s_mul_i32 s19, s11, s17
	s_add_i32 s18, s20, s18
	s_add_i32 s18, s18, s19
	s_mul_i32 s21, s10, s17
	s_mul_hi_u32 s19, s17, s18
	s_mul_i32 s20, s17, s18
	s_mul_hi_u32 s17, s17, s21
	s_add_u32 s17, s17, s20
	s_addc_u32 s19, 0, s19
	s_mul_hi_u32 s22, s16, s21
	s_mul_i32 s21, s16, s21
	s_add_u32 s17, s17, s21
	s_mul_hi_u32 s20, s16, s18
	s_addc_u32 s17, s19, s22
	s_addc_u32 s19, s20, 0
	s_mul_i32 s18, s16, s18
	s_add_u32 s17, s17, s18
	s_addc_u32 s18, 0, s19
	v_add_co_u32_e32 v1, vcc, s17, v1
	s_cmp_lg_u64 vcc, 0
	s_addc_u32 s16, s16, s18
	v_readfirstlane_b32 s18, v1
	s_mul_i32 s17, s10, s16
	s_mul_hi_u32 s19, s10, s18
	s_add_i32 s17, s19, s17
	s_mul_i32 s11, s11, s18
	s_add_i32 s17, s17, s11
	s_mul_i32 s10, s10, s18
	s_mul_hi_u32 s19, s16, s10
	s_mul_i32 s20, s16, s10
	s_mul_i32 s22, s18, s17
	s_mul_hi_u32 s10, s18, s10
	s_mul_hi_u32 s21, s18, s17
	s_add_u32 s10, s10, s22
	s_addc_u32 s18, 0, s21
	s_add_u32 s10, s10, s20
	s_mul_hi_u32 s11, s16, s17
	s_addc_u32 s10, s18, s19
	s_addc_u32 s11, s11, 0
	s_mul_i32 s17, s16, s17
	s_add_u32 s10, s10, s17
	s_addc_u32 s11, 0, s11
	v_add_co_u32_e32 v1, vcc, s10, v1
	s_cmp_lg_u64 vcc, 0
	s_addc_u32 s18, s16, s11
	s_ashr_i32 s10, s3, 31
	s_add_u32 s16, s2, s10
	s_mov_b32 s11, s10
	s_addc_u32 s17, s3, s10
	s_xor_b64 s[16:17], s[16:17], s[10:11]
	v_readfirstlane_b32 s20, v1
	s_mul_i32 s19, s16, s18
	s_mul_hi_u32 s21, s16, s20
	s_mul_hi_u32 s3, s16, s18
	s_add_u32 s19, s21, s19
	s_addc_u32 s3, 0, s3
	s_mul_hi_u32 s22, s17, s20
	s_mul_i32 s20, s17, s20
	s_add_u32 s19, s19, s20
	s_mul_hi_u32 s21, s17, s18
	s_addc_u32 s3, s3, s22
	s_addc_u32 s19, s21, 0
	s_mul_i32 s18, s17, s18
	s_add_u32 s3, s3, s18
	s_addc_u32 s18, 0, s19
	s_add_u32 s19, s3, 1
	s_addc_u32 s20, s18, 0
	s_add_u32 s21, s3, 2
	s_mul_i32 s23, s9, s18
	s_mul_hi_u32 s24, s9, s3
	s_addc_u32 s22, s18, 0
	s_add_i32 s24, s24, s23
	s_mul_i32 s23, s9, s3
	v_mov_b32_e32 v1, s23
	v_sub_co_u32_e32 v1, vcc, s16, v1
	s_cmp_lg_u64 vcc, 0
	s_subb_u32 s16, s17, s24
	v_subrev_co_u32_e32 v2, vcc, s9, v1
	s_cmp_lg_u64 vcc, 0
	s_subb_u32 s17, s16, 0
	v_readfirstlane_b32 s23, v2
	s_cmp_ge_u32 s23, s9
	s_cselect_b32 s23, -1, 0
	s_cmp_eq_u32 s17, 0
	s_cselect_b32 s17, s23, -1
	s_cmp_lg_u32 s17, 0
	s_cselect_b32 s17, s22, s20
	v_readfirstlane_b32 s20, v1
	s_cselect_b32 s19, s21, s19
	s_cmp_ge_u32 s20, s9
	s_cselect_b32 s20, -1, 0
	s_cmp_eq_u32 s16, 0
	s_cselect_b32 s16, s20, -1
	s_cmp_lg_u32 s16, 0
	s_cselect_b32 s17, s17, s18
	s_cselect_b32 s16, s19, s3
	s_xor_b64 s[16:17], s[16:17], s[10:11]
	s_sub_u32 s20, s16, s10
	s_load_dwordx4 s[16:19], s[4:5], 0x44
	s_cbranch_execnz .LBB25_3
.LBB25_2:
	v_cvt_f32_u32_e32 v1, s9
	s_sub_i32 s0, 0, s9
	v_rcp_iflag_f32_e32 v1, v1
	v_mul_f32_e32 v1, 0x4f7ffffe, v1
	v_cvt_u32_f32_e32 v1, v1
	v_readfirstlane_b32 s1, v1
	s_mul_i32 s0, s0, s1
	s_mul_hi_u32 s0, s1, s0
	s_add_i32 s1, s1, s0
	s_mul_hi_u32 s0, s2, s1
	s_mul_i32 s3, s0, s9
	s_sub_i32 s2, s2, s3
	s_add_i32 s1, s0, 1
	s_sub_i32 s3, s2, s9
	s_cmp_ge_u32 s2, s9
	s_cselect_b32 s0, s1, s0
	s_cselect_b32 s2, s3, s2
	s_add_i32 s1, s0, 1
	s_cmp_ge_u32 s2, s9
	s_cselect_b32 s20, s1, s0
.LBB25_3:
	s_add_i32 s0, s6, 1
	s_mul_hi_i32 s3, s15, s0
	s_mov_b32 s2, 0
	s_cmp_lg_u64 s[2:3], 0
	s_mul_i32 s2, s15, s0
	s_cbranch_scc0 .LBB25_22
; %bb.4:
	v_cvt_f32_u32_e32 v1, s9
	v_cvt_f32_ubyte0_e32 v2, 0
	s_sub_u32 s10, 0, s9
	s_subb_u32 s11, 0, 0
	v_madmk_f32 v1, v2, 0x4f800000, v1
	v_rcp_f32_e32 v1, v1
	v_mul_f32_e32 v1, 0x5f7ffffc, v1
	v_mul_f32_e32 v2, 0x2f800000, v1
	v_trunc_f32_e32 v2, v2
	v_madmk_f32 v1, v2, 0xcf800000, v1
	v_cvt_u32_f32_e32 v2, v2
	v_cvt_u32_f32_e32 v1, v1
	s_waitcnt lgkmcnt(0)
	v_readfirstlane_b32 s19, v2
	v_readfirstlane_b32 s21, v1
	s_mul_i32 s22, s10, s19
	s_mul_hi_u32 s24, s10, s21
	s_mul_i32 s23, s11, s21
	s_add_i32 s22, s24, s22
	s_add_i32 s22, s22, s23
	s_mul_i32 s25, s10, s21
	s_mul_hi_u32 s23, s21, s22
	s_mul_i32 s24, s21, s22
	s_mul_hi_u32 s21, s21, s25
	s_add_u32 s21, s21, s24
	s_addc_u32 s23, 0, s23
	s_mul_hi_u32 s26, s19, s25
	s_mul_i32 s25, s19, s25
	s_add_u32 s21, s21, s25
	s_mul_hi_u32 s24, s19, s22
	s_addc_u32 s21, s23, s26
	s_addc_u32 s23, s24, 0
	s_mul_i32 s22, s19, s22
	s_add_u32 s21, s21, s22
	s_addc_u32 s22, 0, s23
	v_add_co_u32_e32 v1, vcc, s21, v1
	s_cmp_lg_u64 vcc, 0
	s_addc_u32 s19, s19, s22
	v_readfirstlane_b32 s22, v1
	s_mul_i32 s21, s10, s19
	s_mul_hi_u32 s23, s10, s22
	s_add_i32 s21, s23, s21
	s_mul_i32 s11, s11, s22
	s_add_i32 s21, s21, s11
	s_mul_i32 s10, s10, s22
	s_mul_hi_u32 s23, s19, s10
	s_mul_i32 s24, s19, s10
	s_mul_i32 s26, s22, s21
	s_mul_hi_u32 s10, s22, s10
	s_mul_hi_u32 s25, s22, s21
	s_add_u32 s10, s10, s26
	s_addc_u32 s22, 0, s25
	s_add_u32 s10, s10, s24
	s_mul_hi_u32 s11, s19, s21
	s_addc_u32 s10, s22, s23
	s_addc_u32 s11, s11, 0
	s_mul_i32 s21, s19, s21
	s_add_u32 s10, s10, s21
	s_addc_u32 s11, 0, s11
	v_add_co_u32_e32 v1, vcc, s10, v1
	s_cmp_lg_u64 vcc, 0
	s_addc_u32 s19, s19, s11
	s_ashr_i32 s10, s3, 31
	s_add_u32 s22, s2, s10
	s_mov_b32 s11, s10
	s_addc_u32 s23, s3, s10
	s_xor_b64 s[22:23], s[22:23], s[10:11]
	v_readfirstlane_b32 s21, v1
	s_mul_i32 s11, s22, s19
	s_mul_hi_u32 s24, s22, s21
	s_mul_hi_u32 s3, s22, s19
	s_add_u32 s11, s24, s11
	s_addc_u32 s3, 0, s3
	s_mul_hi_u32 s25, s23, s21
	s_mul_i32 s21, s23, s21
	s_add_u32 s11, s11, s21
	s_mul_hi_u32 s24, s23, s19
	s_addc_u32 s3, s3, s25
	s_addc_u32 s11, s24, 0
	s_mul_i32 s19, s23, s19
	s_add_u32 s3, s3, s19
	s_addc_u32 s11, 0, s11
	s_mul_i32 s11, s9, s11
	s_mul_hi_u32 s24, s9, s3
	s_add_i32 s24, s24, s11
	s_mul_i32 s11, s9, s3
	v_mov_b32_e32 v1, s11
	s_add_u32 s19, s3, 1
	s_add_u32 s21, s3, 2
	v_sub_co_u32_e32 v1, vcc, s22, v1
	s_cmp_lg_u64 vcc, 0
	s_subb_u32 s11, s23, s24
	v_subrev_co_u32_e32 v2, vcc, s9, v1
	s_cmp_lg_u64 vcc, 0
	s_subb_u32 s22, s11, 0
	v_cmp_le_u32_e32 vcc, s9, v2
	s_cmp_eq_u32 s22, 0
	v_cndmask_b32_e64 v2, 0, -1, vcc
	s_cselect_b64 vcc, -1, 0
	v_cndmask_b32_e32 v2, -1, v2, vcc
	v_mov_b32_e32 v3, s19
	v_mov_b32_e32 v4, s21
	v_cmp_ne_u32_e32 vcc, 0, v2
	v_cndmask_b32_e32 v2, v3, v4, vcc
	v_cmp_le_u32_e32 vcc, s9, v1
	s_cmp_eq_u32 s11, 0
	v_cndmask_b32_e64 v1, 0, -1, vcc
	s_cselect_b64 vcc, -1, 0
	v_cndmask_b32_e32 v1, -1, v1, vcc
	v_mov_b32_e32 v3, s3
	v_cmp_ne_u32_e32 vcc, 0, v1
	v_cndmask_b32_e32 v1, v3, v2, vcc
	v_xor_b32_e32 v1, s10, v1
	v_subrev_co_u32_e32 v2, vcc, s10, v1
	s_cbranch_execnz .LBB25_6
.LBB25_5:
	v_cvt_f32_u32_e32 v1, s9
	s_sub_i32 s0, 0, s9
	s_mov_b32 s1, 0
	v_rcp_iflag_f32_e32 v1, v1
	v_mul_f32_e32 v1, 0x4f7ffffe, v1
	v_cvt_u32_f32_e32 v1, v1
	v_readfirstlane_b32 s3, v1
	s_mul_i32 s0, s0, s3
	s_mul_hi_u32 s0, s3, s0
	s_add_i32 s3, s3, s0
	s_mul_hi_u32 s0, s2, s3
	s_mul_i32 s10, s0, s9
	s_sub_i32 s2, s2, s10
	s_add_i32 s3, s0, 1
	s_sub_i32 s10, s2, s9
	s_cmp_ge_u32 s2, s9
	s_cselect_b32 s0, s3, s0
	s_cselect_b32 s2, s10, s2
	s_add_i32 s3, s0, 1
	s_cmp_ge_u32 s2, s9
	s_cselect_b32 s0, s3, s0
	v_pk_mov_b32 v[2:3], s[0:1], s[0:1] op_sel:[0,1]
.LBB25_6:
	s_waitcnt lgkmcnt(0)
	s_mul_hi_u32 s0, s20, s16
	s_add_i32 s0, s0, s20
	v_mul_hi_u32 v1, v2, s16
	s_lshr_b32 s19, s0, s17
	v_add_u32_e32 v1, v1, v2
	s_mul_i32 s0, s19, s18
	v_lshrrev_b32_e32 v1, s17, v1
	s_cmp_eq_u32 s0, s20
	v_cmp_eq_u32_e64 s[0:1], s19, v1
	v_mul_lo_u32 v1, v1, s18
	v_cmp_eq_u32_e32 vcc, s20, v2
	s_cselect_b64 s[10:11], -1, 0
	v_cmp_ne_u32_e64 s[2:3], v1, v2
	s_and_b64 s[0:1], s[0:1], s[2:3]
	s_or_b64 s[2:3], vcc, s[10:11]
	s_or_b64 s[0:1], s[2:3], s[0:1]
	s_and_b64 vcc, exec, s[0:1]
	s_cbranch_vccnz .LBB25_24
; %bb.7:
	s_load_dwordx8 s[24:31], s[4:5], 0x20
	s_load_dword s0, s[4:5], 0x40
	s_mov_b32 s10, 0
	s_waitcnt lgkmcnt(0)
	s_mul_hi_u32 s1, s20, s24
	s_add_i32 s1, s1, s20
	s_lshr_b32 s11, s1, s25
	s_mul_i32 s1, s11, s26
	s_sub_i32 s1, s20, s1
	s_mul_hi_u32 s2, s1, s27
	s_add_i32 s2, s1, s2
	s_lshr_b32 s21, s2, s28
	s_mul_i32 s2, s21, s29
	s_sub_i32 s1, s1, s2
	;; [unrolled: 5-line block ×3, first 2 shown]
	s_mul_hi_u32 s1, s0, s16
	s_add_i32 s0, s0, s1
	s_lshr_b32 s22, s0, s17
	s_lshl_b32 s23, s2, 2
	s_add_i32 s22, s22, s7
	s_cmp_lt_i32 s22, s12
	s_cselect_b64 s[0:1], -1, 0
	s_add_i32 s23, s23, s8
	s_cmp_lt_i32 s23, s14
	s_cselect_b64 s[2:3], -1, 0
	s_and_b64 s[0:1], s[0:1], s[2:3]
	s_andn2_b64 vcc, exec, s[0:1]
	s_cbranch_vccnz .LBB25_24
; %bb.8:
	s_load_dwordx4 s[0:3], s[4:5], 0x0
	s_lshl_b32 s4, s9, 4
	s_mov_b32 s5, s10
	s_lshl_b64 s[4:5], s[4:5], 2
	s_mul_i32 s24, s21, s14
	s_waitcnt lgkmcnt(0)
	s_add_u32 s14, s2, s4
	s_mul_i32 s11, s11, s12
	s_addc_u32 s21, s3, s5
	s_add_i32 s4, s22, s11
	s_mul_i32 s4, s4, s13
	s_add_i32 s5, s23, s24
	s_add_i32 s5, s5, s4
	v_lshl_or_b32 v2, s5, 9, v0
	v_ashrrev_i32_e32 v3, 31, v2
	v_lshlrev_b64 v[2:3], 2, v[2:3]
	v_mov_b32_e32 v1, s1
	v_add_co_u32_e32 v2, vcc, s0, v2
	v_addc_co_u32_e32 v3, vcc, v1, v3, vcc
	global_load_dword v5, v[2:3], off
	v_lshl_or_b32 v4, s8, 9, v0
	v_cvt_f32_u32_e32 v0, s9
	v_cvt_f32_ubyte0_e32 v1, 0
	s_add_i32 s0, s7, s6
	s_lshl_b32 s0, s0, 2
	v_mac_f32_e32 v0, 0x4f800000, v1
	v_rcp_f32_e32 v0, v0
	v_cvt_f32_u32_e32 v1, s9
	s_add_i32 s0, s0, s8
	s_ashr_i32 s1, s0, 31
	s_lshl_b64 s[0:1], s[0:1], 3
	v_mul_f32_e32 v0, 0x5f7ffffc, v0
	v_rcp_iflag_f32_e32 v1, v1
	s_add_u32 s0, s2, s0
	v_mul_f32_e32 v9, 0x2f800000, v0
	s_addc_u32 s1, s3, s1
	v_trunc_f32_e32 v10, v9
	s_load_dwordx2 s[0:1], s[0:1], 0x0
	v_mac_f32_e32 v0, 0xcf800000, v10
	v_cvt_u32_f32_e32 v9, v0
	v_mul_f32_e32 v0, 0x4f7ffffe, v1
	v_cvt_u32_f32_e32 v10, v10
	v_cvt_u32_f32_e32 v11, v0
	s_add_i32 s13, s6, -1
	s_waitcnt lgkmcnt(0)
	v_mov_b32_e32 v6, s1
	v_mov_b32_e32 v7, s0
	;; [unrolled: 1-line block ×3, first 2 shown]
	s_mov_b32 s6, 0x3fb8aa3b
	s_mov_b32 s12, 0xc2ce8ed0
	;; [unrolled: 1-line block ×4, first 2 shown]
	v_mov_b32_e32 v12, 0x7f800000
	s_mul_hi_i32 s11, s13, s15
	s_cmp_lg_u64 s[10:11], 0
	s_mul_i32 s4, s13, s15
	s_cbranch_scc0 .LBB25_15
.LBB25_9:
	s_sub_u32 s0, 0, s9
	v_readfirstlane_b32 s5, v9
	v_readfirstlane_b32 s25, v10
	s_subb_u32 s1, 0, 0
	s_mul_hi_u32 s24, s0, s5
	s_mul_i32 s26, s0, s25
	s_mul_i32 s23, s1, s5
	s_add_i32 s24, s24, s26
	s_add_i32 s24, s24, s23
	s_mul_i32 s27, s0, s5
	s_mul_hi_u32 s23, s5, s24
	s_mul_i32 s26, s5, s24
	s_mul_hi_u32 s5, s5, s27
	s_add_u32 s5, s5, s26
	s_addc_u32 s23, 0, s23
	s_mul_hi_u32 s28, s25, s27
	s_mul_i32 s27, s25, s27
	s_add_u32 s5, s5, s27
	s_mul_hi_u32 s26, s25, s24
	s_addc_u32 s5, s23, s28
	s_addc_u32 s23, s26, 0
	s_mul_i32 s24, s25, s24
	s_add_u32 s5, s5, s24
	s_addc_u32 s23, 0, s23
	v_add_co_u32_e32 v0, vcc, s5, v9
	s_cmp_lg_u64 vcc, 0
	s_addc_u32 s5, s25, s23
	v_readfirstlane_b32 s24, v0
	s_mul_i32 s23, s0, s5
	s_mul_hi_u32 s25, s0, s24
	s_add_i32 s23, s25, s23
	s_mul_i32 s1, s1, s24
	s_add_i32 s23, s23, s1
	s_mul_i32 s0, s0, s24
	s_mul_hi_u32 s25, s5, s0
	s_mul_i32 s26, s5, s0
	s_mul_i32 s28, s24, s23
	s_mul_hi_u32 s0, s24, s0
	s_mul_hi_u32 s27, s24, s23
	s_add_u32 s0, s0, s28
	s_addc_u32 s24, 0, s27
	s_add_u32 s0, s0, s26
	s_mul_hi_u32 s1, s5, s23
	s_addc_u32 s0, s24, s25
	s_addc_u32 s1, s1, 0
	s_mul_i32 s23, s5, s23
	s_add_u32 s0, s0, s23
	s_addc_u32 s1, 0, s1
	v_add_co_u32_e32 v0, vcc, s0, v0
	s_cmp_lg_u64 vcc, 0
	s_addc_u32 s5, s5, s1
	s_ashr_i32 s0, s11, 31
	s_add_u32 s24, s4, s0
	s_mov_b32 s1, s0
	s_addc_u32 s25, s11, s0
	s_xor_b64 s[24:25], s[24:25], s[0:1]
	v_readfirstlane_b32 s23, v0
	s_mul_i32 s11, s24, s5
	s_mul_hi_u32 s26, s24, s23
	s_mul_hi_u32 s1, s24, s5
	s_add_u32 s11, s26, s11
	s_addc_u32 s1, 0, s1
	s_mul_hi_u32 s27, s25, s23
	s_mul_i32 s23, s25, s23
	s_add_u32 s11, s11, s23
	s_mul_hi_u32 s26, s25, s5
	s_addc_u32 s1, s1, s27
	s_addc_u32 s11, s26, 0
	s_mul_i32 s5, s25, s5
	s_add_u32 s1, s1, s5
	s_addc_u32 s5, 0, s11
	s_mul_i32 s5, s9, s5
	s_mul_hi_u32 s26, s9, s1
	s_add_i32 s26, s26, s5
	s_mul_i32 s5, s9, s1
	v_mov_b32_e32 v0, s5
	s_add_u32 s11, s1, 1
	s_add_u32 s23, s1, 2
	v_sub_co_u32_e32 v0, vcc, s24, v0
	s_cmp_lg_u64 vcc, 0
	s_subb_u32 s5, s25, s26
	v_subrev_co_u32_e32 v1, vcc, s9, v0
	s_cmp_lg_u64 vcc, 0
	s_subb_u32 s24, s5, 0
	v_cmp_le_u32_e32 vcc, s9, v1
	s_cmp_eq_u32 s24, 0
	v_cndmask_b32_e64 v1, 0, -1, vcc
	s_cselect_b64 vcc, -1, 0
	v_cndmask_b32_e32 v1, -1, v1, vcc
	v_mov_b32_e32 v13, s11
	v_mov_b32_e32 v14, s23
	v_cmp_ne_u32_e32 vcc, 0, v1
	v_cndmask_b32_e32 v1, v13, v14, vcc
	v_cmp_le_u32_e32 vcc, s9, v0
	s_cmp_eq_u32 s5, 0
	v_cndmask_b32_e64 v0, 0, -1, vcc
	s_cselect_b64 vcc, -1, 0
	v_cndmask_b32_e32 v0, -1, v0, vcc
	v_mov_b32_e32 v13, s1
	v_cmp_ne_u32_e32 vcc, 0, v0
	v_cndmask_b32_e32 v0, v13, v1, vcc
	v_xor_b32_e32 v0, s0, v0
	v_subrev_co_u32_e32 v0, vcc, s0, v0
	s_cbranch_execnz .LBB25_11
.LBB25_10:
	s_sub_i32 s0, 0, s9
	v_mul_lo_u32 v0, s0, v11
	v_mul_hi_u32 v0, v11, v0
	v_add_u32_e32 v0, v11, v0
	v_mul_hi_u32 v0, s4, v0
	v_mul_lo_u32 v13, v0, s9
	v_sub_u32_e32 v13, s4, v13
	v_add_u32_e32 v1, 1, v0
	v_subrev_u32_e32 v14, s9, v13
	v_cmp_le_u32_e32 vcc, s9, v13
	v_cndmask_b32_e32 v13, v13, v14, vcc
	v_cndmask_b32_e32 v0, v0, v1, vcc
	v_add_u32_e32 v1, 1, v0
	v_cmp_le_u32_e32 vcc, s9, v13
	v_cndmask_b32_e32 v0, v0, v1, vcc
.LBB25_11:
	v_cmp_ne_u32_e32 vcc, v8, v0
	s_cbranch_vccz .LBB25_14
; %bb.12:
	s_add_i32 s23, s13, s7
	s_add_i32 s0, s23, s9
	s_lshl_b32 s0, s0, 2
	v_mul_hi_u32 v1, v0, s16
	s_add_i32 s0, s0, s8
	s_mov_b32 s1, s10
	v_add_u32_e32 v1, v1, v0
	s_lshl_b64 s[0:1], s[0:1], 3
	v_lshrrev_b32_e32 v1, s17, v1
	s_add_u32 s4, s2, s0
	v_mul_lo_u32 v13, v1, s18
	s_addc_u32 s5, s3, s1
	v_cmp_eq_u32_e32 vcc, v13, v0
	v_cmp_gt_u32_e64 s[0:1], s19, v1
	s_or_b64 s[0:1], s[0:1], vcc
	s_and_b64 vcc, exec, s[0:1]
	s_cbranch_vccnz .LBB25_16
; %bb.13:
	s_add_i32 s11, s13, -1
	s_mov_b64 s[0:1], 0
	s_branch .LBB25_17
.LBB25_14:
                                        ; implicit-def: $sgpr0_sgpr1
                                        ; implicit-def: $vgpr14
                                        ; implicit-def: $vgpr1
                                        ; implicit-def: $vgpr13
                                        ; implicit-def: $sgpr11
                                        ; implicit-def: $vgpr0
	s_branch .LBB25_18
.LBB25_15:
                                        ; implicit-def: $vgpr0_vgpr1
	s_branch .LBB25_10
.LBB25_16:
	s_mov_b64 s[0:1], -1
	s_mov_b32 s11, s13
	v_mov_b32_e32 v0, v8
.LBB25_17:
	v_lshl_add_u32 v14, s23, 11, v4
	v_ashrrev_i32_e32 v15, 31, v14
	v_lshlrev_b64 v[14:15], 2, v[14:15]
	v_mov_b32_e32 v1, s21
	v_add_co_u32_e32 v14, vcc, s14, v14
	v_addc_co_u32_e32 v15, vcc, v1, v15, vcc
	global_load_dword v14, v[14:15], off
	s_load_dwordx2 s[4:5], s[4:5], 0x0
	v_max_f32_e32 v1, v7, v7
	s_waitcnt lgkmcnt(0)
	v_max_f32_e64 v13, s4, s4
	v_max_f32_e32 v1, v1, v13
	v_sub_f32_e32 v13, v7, v1
	v_sub_f32_e32 v15, s4, v1
	v_mul_f32_e32 v16, 0x3fb8aa3b, v13
	v_mul_f32_e32 v17, 0x3fb8aa3b, v15
	v_fma_f32 v18, v13, s6, -v16
	v_rndne_f32_e32 v19, v16
	v_fma_f32 v20, v15, s6, -v17
	v_rndne_f32_e32 v21, v17
	v_fmac_f32_e32 v18, 0x32a5705f, v13
	v_sub_f32_e32 v16, v16, v19
	v_fmac_f32_e32 v20, 0x32a5705f, v15
	v_sub_f32_e32 v17, v17, v21
	v_add_f32_e32 v16, v16, v18
	v_cvt_i32_f32_e32 v19, v19
	v_add_f32_e32 v17, v17, v20
	v_exp_f32_e32 v16, v16
	v_cvt_i32_f32_e32 v21, v21
	v_exp_f32_e32 v17, v17
	v_cmp_ngt_f32_e32 vcc, s12, v13
	v_ldexp_f32 v16, v16, v19
	v_cndmask_b32_e32 v16, 0, v16, vcc
	v_ldexp_f32 v17, v17, v21
	v_cmp_ngt_f32_e32 vcc, s12, v15
	v_cndmask_b32_e32 v17, 0, v17, vcc
	v_cmp_nlt_f32_e32 vcc, s20, v13
	v_cndmask_b32_e32 v16, v12, v16, vcc
	v_cmp_nlt_f32_e32 vcc, s20, v15
	v_cndmask_b32_e32 v17, v12, v17, vcc
	v_cmp_le_f32_e32 vcc, s22, v13
	v_cndmask_b32_e32 v16, 0, v16, vcc
	v_cmp_le_f32_e32 vcc, s22, v15
	v_cndmask_b32_e32 v15, 0, v17, vcc
	v_mul_f32_e32 v13, s5, v15
	v_fmac_f32_e32 v13, v6, v16
	s_waitcnt vmcnt(0)
	v_mul_f32_e32 v14, v14, v15
	v_fmac_f32_e32 v14, v5, v16
	s_cbranch_execnz .LBB25_19
.LBB25_18:
	s_add_i32 s11, s13, -1
	s_mov_b64 s[0:1], 0
	v_mov_b32_e32 v0, v8
	v_mov_b32_e32 v13, v6
	;; [unrolled: 1-line block ×3, first 2 shown]
	s_waitcnt vmcnt(0)
	v_mov_b32_e32 v14, v5
.LBB25_19:
	s_andn2_b64 vcc, exec, s[0:1]
	s_cbranch_vccz .LBB25_23
; %bb.20:
	v_mov_b32_e32 v8, v0
	s_mov_b32 s13, s11
	v_mov_b32_e32 v6, v13
	v_mov_b32_e32 v7, v1
	s_waitcnt vmcnt(0)
	v_mov_b32_e32 v5, v14
	s_mul_hi_i32 s11, s13, s15
	s_cmp_lg_u64 s[10:11], 0
	s_mul_i32 s4, s13, s15
	s_cbranch_scc1 .LBB25_9
	s_branch .LBB25_15
.LBB25_21:
                                        ; implicit-def: $sgpr20_sgpr21
	s_load_dwordx4 s[16:19], s[4:5], 0x44
	s_branch .LBB25_2
.LBB25_22:
                                        ; implicit-def: $vgpr2_vgpr3
	s_branch .LBB25_5
.LBB25_23:
	v_div_scale_f32 v0, s[0:1], v13, v13, v14
	v_rcp_f32_e32 v1, v0
	v_div_scale_f32 v4, vcc, v14, v13, v14
	s_waitcnt vmcnt(0)
	v_fma_f32 v5, -v0, v1, 1.0
	v_fmac_f32_e32 v1, v5, v1
	v_mul_f32_e32 v5, v4, v1
	v_fma_f32 v6, -v0, v5, v4
	v_fmac_f32_e32 v5, v6, v1
	v_fma_f32 v0, -v0, v5, v4
	v_div_fmas_f32 v0, v0, v1, v5
	v_div_fixup_f32 v0, v0, v13, v14
	global_store_dword v[2:3], v0, off
.LBB25_24:
	s_endpgm
	.section	.rodata,"a",@progbits
	.p2align	6, 0x0
	.amdhsa_kernel _ZL33flash_attn_stream_k_fixup_generalILi512ELi1ELi4EEvPfPK15HIP_vector_typeIfLj2EEiiiiS1_IjLj3EES5_S5_S5_
		.amdhsa_group_segment_fixed_size 0
		.amdhsa_private_segment_fixed_size 0
		.amdhsa_kernarg_size 336
		.amdhsa_user_sgpr_count 6
		.amdhsa_user_sgpr_private_segment_buffer 1
		.amdhsa_user_sgpr_dispatch_ptr 0
		.amdhsa_user_sgpr_queue_ptr 0
		.amdhsa_user_sgpr_kernarg_segment_ptr 1
		.amdhsa_user_sgpr_dispatch_id 0
		.amdhsa_user_sgpr_flat_scratch_init 0
		.amdhsa_user_sgpr_kernarg_preload_length 0
		.amdhsa_user_sgpr_kernarg_preload_offset 0
		.amdhsa_user_sgpr_private_segment_size 0
		.amdhsa_uses_dynamic_stack 0
		.amdhsa_system_sgpr_private_segment_wavefront_offset 0
		.amdhsa_system_sgpr_workgroup_id_x 1
		.amdhsa_system_sgpr_workgroup_id_y 1
		.amdhsa_system_sgpr_workgroup_id_z 1
		.amdhsa_system_sgpr_workgroup_info 0
		.amdhsa_system_vgpr_workitem_id 0
		.amdhsa_next_free_vgpr 22
		.amdhsa_next_free_sgpr 32
		.amdhsa_accum_offset 24
		.amdhsa_reserve_vcc 1
		.amdhsa_reserve_flat_scratch 0
		.amdhsa_float_round_mode_32 0
		.amdhsa_float_round_mode_16_64 0
		.amdhsa_float_denorm_mode_32 3
		.amdhsa_float_denorm_mode_16_64 3
		.amdhsa_dx10_clamp 1
		.amdhsa_ieee_mode 1
		.amdhsa_fp16_overflow 0
		.amdhsa_tg_split 0
		.amdhsa_exception_fp_ieee_invalid_op 0
		.amdhsa_exception_fp_denorm_src 0
		.amdhsa_exception_fp_ieee_div_zero 0
		.amdhsa_exception_fp_ieee_overflow 0
		.amdhsa_exception_fp_ieee_underflow 0
		.amdhsa_exception_fp_ieee_inexact 0
		.amdhsa_exception_int_div_zero 0
	.end_amdhsa_kernel
	.section	.text._ZL33flash_attn_stream_k_fixup_generalILi512ELi1ELi4EEvPfPK15HIP_vector_typeIfLj2EEiiiiS1_IjLj3EES5_S5_S5_,"axG",@progbits,_ZL33flash_attn_stream_k_fixup_generalILi512ELi1ELi4EEvPfPK15HIP_vector_typeIfLj2EEiiiiS1_IjLj3EES5_S5_S5_,comdat
.Lfunc_end25:
	.size	_ZL33flash_attn_stream_k_fixup_generalILi512ELi1ELi4EEvPfPK15HIP_vector_typeIfLj2EEiiiiS1_IjLj3EES5_S5_S5_, .Lfunc_end25-_ZL33flash_attn_stream_k_fixup_generalILi512ELi1ELi4EEvPfPK15HIP_vector_typeIfLj2EEiiiiS1_IjLj3EES5_S5_S5_
                                        ; -- End function
	.section	.AMDGPU.csdata,"",@progbits
; Kernel info:
; codeLenInByte = 2804
; NumSgprs: 36
; NumVgprs: 22
; NumAgprs: 0
; TotalNumVgprs: 22
; ScratchSize: 0
; MemoryBound: 0
; FloatMode: 240
; IeeeMode: 1
; LDSByteSize: 0 bytes/workgroup (compile time only)
; SGPRBlocks: 4
; VGPRBlocks: 2
; NumSGPRsForWavesPerEU: 36
; NumVGPRsForWavesPerEU: 22
; AccumOffset: 24
; Occupancy: 8
; WaveLimiterHint : 0
; COMPUTE_PGM_RSRC2:SCRATCH_EN: 0
; COMPUTE_PGM_RSRC2:USER_SGPR: 6
; COMPUTE_PGM_RSRC2:TRAP_HANDLER: 0
; COMPUTE_PGM_RSRC2:TGID_X_EN: 1
; COMPUTE_PGM_RSRC2:TGID_Y_EN: 1
; COMPUTE_PGM_RSRC2:TGID_Z_EN: 1
; COMPUTE_PGM_RSRC2:TIDIG_COMP_CNT: 0
; COMPUTE_PGM_RSRC3_GFX90A:ACCUM_OFFSET: 5
; COMPUTE_PGM_RSRC3_GFX90A:TG_SPLIT: 0
	.section	.text._ZL15flash_attn_tileILi512ELi512ELi4ELi8ELb1EEvPKcS1_S1_S1_S1_PKiPfP15HIP_vector_typeIfLj2EEffffjfiS5_IjLj3EEiiiiiiiiiiiliiliiiiil,"axG",@progbits,_ZL15flash_attn_tileILi512ELi512ELi4ELi8ELb1EEvPKcS1_S1_S1_S1_PKiPfP15HIP_vector_typeIfLj2EEffffjfiS5_IjLj3EEiiiiiiiiiiiliiliiiiil,comdat
	.globl	_ZL15flash_attn_tileILi512ELi512ELi4ELi8ELb1EEvPKcS1_S1_S1_S1_PKiPfP15HIP_vector_typeIfLj2EEffffjfiS5_IjLj3EEiiiiiiiiiiiliiliiiiil ; -- Begin function _ZL15flash_attn_tileILi512ELi512ELi4ELi8ELb1EEvPKcS1_S1_S1_S1_PKiPfP15HIP_vector_typeIfLj2EEffffjfiS5_IjLj3EEiiiiiiiiiiiliiliiiiil
	.p2align	8
	.type	_ZL15flash_attn_tileILi512ELi512ELi4ELi8ELb1EEvPKcS1_S1_S1_S1_PKiPfP15HIP_vector_typeIfLj2EEffffjfiS5_IjLj3EEiiiiiiiiiiiliiliiiiil,@function
_ZL15flash_attn_tileILi512ELi512ELi4ELi8ELb1EEvPKcS1_S1_S1_S1_PKiPfP15HIP_vector_typeIfLj2EEffffjfiS5_IjLj3EEiiiiiiiiiiiliiliiiiil: ; @_ZL15flash_attn_tileILi512ELi512ELi4ELi8ELb1EEvPKcS1_S1_S1_S1_PKiPfP15HIP_vector_typeIfLj2EEffffjfiS5_IjLj3EEiiiiiiiiiiiliiliiiiil
; %bb.0:
	s_load_dwordx4 s[0:3], s[4:5], 0x5c
	s_load_dwordx2 s[28:29], s[4:5], 0x80
	s_load_dwordx2 s[34:35], s[4:5], 0xb8
	s_mov_b64 s[30:31], 0
	s_waitcnt lgkmcnt(0)
	s_ashr_i32 s9, s3, 31
	s_lshr_b32 s9, s9, 29
	s_add_i32 s9, s3, s9
	s_ashr_i32 s9, s9, 3
	v_cvt_f32_u32_e32 v1, s9
	s_sub_i32 s10, 0, s9
	v_rcp_iflag_f32_e32 v1, v1
	v_mul_f32_e32 v1, 0x4f7ffffe, v1
	v_cvt_u32_f32_e32 v1, v1
	v_readfirstlane_b32 s11, v1
	s_mul_i32 s10, s10, s11
	s_mul_hi_u32 s10, s11, s10
	s_add_i32 s11, s11, s10
	s_mul_hi_u32 s10, s8, s11
	s_mul_i32 s11, s10, s9
	s_sub_i32 s11, s8, s11
	s_add_i32 s12, s10, 1
	s_sub_i32 s13, s11, s9
	s_cmp_ge_u32 s11, s9
	s_cselect_b32 s10, s12, s10
	s_cselect_b32 s11, s13, s11
	s_add_i32 s12, s10, 1
	s_cmp_ge_u32 s11, s9
	s_cselect_b32 s33, s12, s10
	s_abs_i32 s9, s29
	v_cvt_f32_u32_e32 v1, s9
	s_lshl_b32 s8, s8, 3
	s_mul_i32 s12, s33, s3
	s_xor_b32 s10, s3, s29
	v_rcp_iflag_f32_e32 v1, v1
	s_sub_i32 s13, 0, s9
	s_sub_i32 s29, s8, s12
	s_abs_i32 s11, s3
	v_mul_f32_e32 v1, 0x4f7ffffe, v1
	v_cvt_u32_f32_e32 v1, v1
	s_ashr_i32 s10, s10, 31
	v_readfirstlane_b32 s8, v1
	s_mul_i32 s13, s13, s8
	s_mul_hi_u32 s12, s8, s13
	s_add_i32 s8, s8, s12
	s_mul_hi_u32 s8, s11, s8
	s_mul_i32 s12, s8, s9
	s_sub_i32 s11, s11, s12
	s_add_i32 s13, s8, 1
	s_sub_i32 s12, s11, s9
	s_cmp_ge_u32 s11, s9
	s_cselect_b32 s8, s13, s8
	s_cselect_b32 s11, s12, s11
	s_add_i32 s12, s8, 1
	s_cmp_ge_u32 s11, s9
	s_cselect_b32 s8, s12, s8
	s_xor_b32 s8, s8, s10
	s_sub_i32 s37, s8, s10
	s_abs_i32 s36, s37
	v_cvt_f32_u32_e32 v1, s36
	s_load_dwordx16 s[8:23], s[4:5], 0x0
	v_rcp_iflag_f32_e32 v1, v1
	s_waitcnt lgkmcnt(0)
	s_cmp_eq_u64 s[14:15], 0
	v_mul_f32_e32 v1, 0x4f7ffffe, v1
	v_cvt_u32_f32_e32 v1, v1
	v_readfirstlane_b32 s38, v1
	s_cbranch_scc1 .LBB26_2
; %bb.1:
	s_abs_i32 s26, s34
	v_cvt_f32_u32_e32 v1, s26
	s_sub_i32 s31, 0, s26
	s_abs_i32 s30, s33
	s_ashr_i32 s27, s33, 31
	v_rcp_iflag_f32_e32 v1, v1
	s_load_dwordx2 s[24:25], s[4:5], 0xc8
	v_mul_f32_e32 v1, 0x4f7ffffe, v1
	v_cvt_u32_f32_e32 v1, v1
	v_readfirstlane_b32 s34, v1
	s_mul_i32 s31, s31, s34
	s_mul_hi_u32 s31, s34, s31
	s_add_i32 s34, s34, s31
	s_mul_hi_u32 s31, s30, s34
	s_mul_i32 s31, s31, s26
	s_sub_i32 s30, s30, s31
	s_sub_i32 s31, s30, s26
	s_cmp_ge_u32 s30, s26
	s_cselect_b32 s30, s31, s30
	s_sub_i32 s31, s30, s26
	s_cmp_ge_u32 s30, s26
	s_cselect_b32 s26, s31, s30
	s_xor_b32 s26, s26, s27
	s_sub_i32 s26, s26, s27
	s_ashr_i32 s27, s26, 31
	s_waitcnt lgkmcnt(0)
	s_mul_i32 s25, s26, s25
	s_mul_hi_u32 s30, s26, s24
	s_add_i32 s25, s30, s25
	s_mul_i32 s27, s27, s24
	s_add_i32 s25, s25, s27
	s_mul_i32 s26, s26, s24
	s_add_u32 s30, s14, s26
	s_addc_u32 s31, s15, s25
.LBB26_2:
	s_load_dwordx4 s[24:27], s[4:5], 0x70
	v_bfe_u32 v3, v0, 10, 10
	v_lshrrev_b32_e32 v1, 2, v3
	v_lshl_add_u32 v9, s6, 2, v1
	v_mul_hi_u32 v1, s0, v9
	s_waitcnt lgkmcnt(0)
	s_mul_i32 s14, s33, s26
	s_ashr_i32 s26, s14, 31
	s_mul_i32 s15, s29, s25
	s_add_u32 s8, s8, s14
	v_add_u32_e32 v1, v9, v1
	s_addc_u32 s9, s9, s26
	s_ashr_i32 s14, s15, 31
	v_lshrrev_b32_e32 v1, s1, v1
	s_add_u32 s8, s8, s15
	v_mul_lo_u32 v1, v1, s2
	s_addc_u32 s9, s9, s14
	v_sub_u32_e32 v14, v9, v1
	s_ashr_i32 s15, s24, 31
	v_mov_b32_e32 v1, s24
	v_alignbit_b32 v1, s15, v1, 2
	v_mad_u64_u32 v[4:5], s[0:1], v1, v14, 0
	v_mov_b32_e32 v2, v5
	s_lshr_b32 s0, s15, 2
	v_mad_u64_u32 v[6:7], s[0:1], s0, v14, v[2:3]
	v_mov_b32_e32 v5, v6
	v_and_b32_e32 v8, 0x3ff, v0
	v_lshlrev_b64 v[0:1], 2, v[4:5]
	v_mov_b32_e32 v2, s9
	v_add_co_u32_e32 v0, vcc, s8, v0
	v_addc_co_u32_e32 v1, vcc, v2, v1, vcc
	v_lshlrev_b32_e32 v2, 4, v8
	v_lshlrev_b32_e32 v15, 1, v3
	s_ashr_i32 s14, s25, 31
	v_add_co_u32_e32 v18, vcc, v0, v2
	v_mov_b32_e32 v0, s25
	v_and_b32_e32 v21, 6, v15
	v_alignbit_b32 v16, s14, v0, 2
	v_addc_co_u32_e32 v19, vcc, 0, v1, vcc
	v_mad_u64_u32 v[0:1], s[0:1], v16, v21, 0
	v_mov_b32_e32 v2, v1
	s_lshr_b32 s8, s14, 2
	v_mad_u64_u32 v[4:5], s[0:1], s8, v21, v[2:3]
	v_mov_b32_e32 v1, v4
	v_lshlrev_b64 v[0:1], 2, v[0:1]
	v_add_co_u32_e32 v0, vcc, v18, v0
	v_addc_co_u32_e32 v1, vcc, v19, v1, vcc
	global_load_dwordx4 v[4:7], v[0:1], off
	global_load_dwordx4 v[10:13], v[0:1], off offset:512
	global_load_dwordx4 v[22:25], v[0:1], off offset:1024
	;; [unrolled: 1-line block ×3, first 2 shown]
	v_or_b32_e32 v15, 1, v15
	v_and_b32_e32 v17, 7, v15
	v_mad_u64_u32 v[0:1], s[0:1], v16, v17, 0
	v_mov_b32_e32 v2, v1
	v_mad_u64_u32 v[16:17], s[0:1], s8, v17, v[2:3]
	v_mov_b32_e32 v1, v16
	v_lshlrev_b64 v[0:1], 2, v[0:1]
	v_add_co_u32_e32 v0, vcc, v18, v0
	v_addc_co_u32_e32 v1, vcc, v19, v1, vcc
	global_load_dwordx4 v[30:33], v[0:1], off
	global_load_dwordx4 v[34:37], v[0:1], off offset:512
	global_load_dwordx4 v[38:41], v[0:1], off offset:1024
	global_load_dwordx4 v[42:45], v[0:1], off offset:1536
	s_load_dword s0, s[4:5], 0x40
	s_mov_b32 s1, 0
	v_lshlrev_b32_e32 v2, 1, v8
	v_lshlrev_b32_e32 v16, 9, v3
	v_add_lshl_u32 v17, v16, v2, 2
	s_cmp_eq_u64 s[18:19], 0
	s_waitcnt vmcnt(7) lgkmcnt(0)
	v_pk_mul_f32 v[0:1], v[4:5], s[0:1] op_sel_hi:[1,0]
	v_pk_mul_f32 v[4:5], v[6:7], s[0:1] op_sel_hi:[1,0]
	s_waitcnt vmcnt(6)
	v_pk_mul_f32 v[6:7], v[10:11], s[0:1] op_sel_hi:[1,0]
	v_pk_mul_f32 v[10:11], v[12:13], s[0:1] op_sel_hi:[1,0]
	v_cvt_f16_f32_e32 v20, v1
	v_cvt_f16_f32_e32 v0, v0
	;; [unrolled: 1-line block ×8, first 2 shown]
	v_pack_b32_f16 v1, v4, v1
	v_pack_b32_f16 v0, v0, v20
	;; [unrolled: 1-line block ×4, first 2 shown]
	s_waitcnt vmcnt(5)
	v_pk_mul_f32 v[12:13], v[22:23], s[0:1] op_sel_hi:[1,0]
	v_pk_mul_f32 v[18:19], v[24:25], s[0:1] op_sel_hi:[1,0]
	s_waitcnt vmcnt(4)
	v_pk_mul_f32 v[22:23], v[26:27], s[0:1] op_sel_hi:[1,0]
	ds_write2_b64 v17, v[0:1], v[4:5] offset1:32
	v_pk_mul_f32 v[0:1], v[28:29], s[0:1] op_sel_hi:[1,0]
	v_cvt_f16_f32_e32 v11, v13
	v_cvt_f16_f32_e32 v12, v12
	;; [unrolled: 1-line block ×8, first 2 shown]
	v_pack_b32_f16 v1, v18, v13
	v_pack_b32_f16 v0, v12, v11
	;; [unrolled: 1-line block ×4, first 2 shown]
	ds_write2_b64 v17, v[0:1], v[4:5] offset0:64 offset1:96
	s_waitcnt vmcnt(3)
	v_pk_mul_f32 v[0:1], v[30:31], s[0:1] op_sel_hi:[1,0]
	v_lshlrev_b32_e32 v4, 8, v15
	v_cvt_f16_f32_e32 v6, v1
	v_cvt_f16_f32_e32 v7, v0
	v_pk_mul_f32 v[0:1], v[32:33], s[0:1] op_sel_hi:[1,0]
	v_cvt_f16_f32_e32 v10, v1
	v_cvt_f16_f32_e32 v11, v0
	v_add_lshl_u32 v2, v4, v2, 2
	s_waitcnt vmcnt(2)
	v_pk_mul_f32 v[0:1], v[34:35], s[0:1] op_sel_hi:[1,0]
	v_pk_mul_f32 v[4:5], v[36:37], s[0:1] op_sel_hi:[1,0]
	v_cvt_f16_f32_e32 v12, v1
	v_cvt_f16_f32_e32 v5, v5
	;; [unrolled: 1-line block ×4, first 2 shown]
	v_pack_b32_f16 v1, v11, v10
	v_pack_b32_f16 v0, v7, v6
	;; [unrolled: 1-line block ×4, first 2 shown]
	ds_write2_b64 v2, v[0:1], v[4:5] offset1:32
	s_waitcnt vmcnt(1)
	v_pk_mul_f32 v[0:1], v[38:39], s[0:1] op_sel_hi:[1,0]
	v_cvt_f16_f32_e32 v6, v1
	v_cvt_f16_f32_e32 v7, v0
	v_pk_mul_f32 v[0:1], v[40:41], s[0:1] op_sel_hi:[1,0]
	v_cvt_f16_f32_e32 v10, v1
	v_cvt_f16_f32_e32 v11, v0
	s_waitcnt vmcnt(0)
	v_pk_mul_f32 v[0:1], v[42:43], s[0:1] op_sel_hi:[1,0]
	v_pk_mul_f32 v[4:5], v[44:45], s[0:1] op_sel_hi:[1,0]
	v_cvt_f16_f32_e32 v12, v1
	v_cvt_f16_f32_e32 v5, v5
	;; [unrolled: 1-line block ×4, first 2 shown]
	v_pack_b32_f16 v1, v11, v10
	v_pack_b32_f16 v0, v7, v6
	;; [unrolled: 1-line block ×4, first 2 shown]
	ds_write2_b64 v2, v[0:1], v[4:5] offset0:64 offset1:96
	s_waitcnt lgkmcnt(0)
	s_barrier
	s_cbranch_scc1 .LBB26_4
; %bb.3:
	s_load_dword s0, s[4:5], 0xd0
	s_waitcnt lgkmcnt(0)
	s_mul_i32 s0, s0, s33
	s_add_i32 s0, s0, s6
	s_lshl_b64 s[0:1], s[0:1], 2
	s_add_u32 s0, s18, s0
	s_addc_u32 s1, s19, s1
	s_load_dword s28, s[0:1], 0x0
.LBB26_4:
	s_lshl_b32 s6, s7, 7
	v_lshlrev_b32_e32 v23, 2, v8
	s_waitcnt lgkmcnt(0)
	s_cmp_lt_i32 s6, s28
	v_mbcnt_lo_u32_b32 v26, -1, 0
	s_cbranch_scc1 .LBB26_6
; %bb.5:
	v_mbcnt_hi_u32_b32 v15, -1, v26
	v_and_b32_e32 v0, 0x60, v15
	s_mov_b32 s0, 0xfeffffff
	s_mov_b32 s14, 0
	v_add_u32_e32 v62, 32, v0
	v_xor_b32_e32 v67, 16, v15
	v_xor_b32_e32 v63, 8, v15
	;; [unrolled: 1-line block ×5, first 2 shown]
	s_mov_b32 s1, s0
	s_mov_b64 s[8:9], 0
	s_branch .LBB26_7
.LBB26_6:
	s_mov_b64 s[8:9], -1
                                        ; implicit-def: $sgpr14
                                        ; implicit-def: $sgpr0_sgpr1
                                        ; implicit-def: $vgpr15
                                        ; implicit-def: $vgpr62
                                        ; implicit-def: $vgpr67
                                        ; implicit-def: $vgpr63
                                        ; implicit-def: $vgpr64
                                        ; implicit-def: $vgpr65
                                        ; implicit-def: $vgpr66
.LBB26_7:
	s_andn2_b64 vcc, exec, s[8:9]
	v_mov_b32_e32 v13, s14
	v_mov_b32_e32 v60, s14
	v_pk_mov_b32 v[10:11], s[0:1], s[0:1] op_sel:[0,1]
	v_mov_b32_e32 v59, s14
	v_mov_b32_e32 v12, s14
	;; [unrolled: 1-line block ×16, first 2 shown]
	s_cbranch_vccnz .LBB26_42
; %bb.8:
	s_sub_i32 s0, 0, s36
	s_mul_i32 s0, s0, s38
	s_mul_hi_u32 s0, s38, s0
	s_add_i32 s38, s38, s0
	s_load_dwordx4 s[24:27], s[4:5], 0x98
	s_load_dword s0, s[4:5], 0x54
	s_load_dwordx2 s[8:9], s[4:5], 0x8c
	s_abs_i32 s1, s29
	s_mul_hi_u32 s18, s1, s38
	s_waitcnt lgkmcnt(0)
	s_ashr_i32 s14, s26, 2
	s_ashr_i32 s26, s35, 1
	;; [unrolled: 1-line block ×4, first 2 shown]
	s_mul_i32 s25, s33, s25
	s_mul_hi_u32 s35, s33, s24
	s_add_i32 s25, s35, s25
	s_mul_i32 s35, s8, s24
	s_ashr_i32 s19, s29, 31
	s_ashr_i32 s34, s37, 31
	s_add_i32 s25, s25, s35
	s_mul_i32 s24, s33, s24
	s_add_u32 s10, s10, s24
	s_mul_i32 s24, s18, s36
	s_addc_u32 s11, s11, s25
	s_sub_i32 s1, s1, s24
	s_xor_b32 s19, s19, s34
	s_add_i32 s24, s18, 1
	s_sub_i32 s25, s1, s36
	s_cmp_ge_u32 s1, s36
	s_cselect_b32 s18, s24, s18
	s_cselect_b32 s1, s25, s1
	s_add_i32 s24, s18, 1
	s_cmp_ge_u32 s1, s36
	s_load_dwordx2 s[38:39], s[4:5], 0xa8
	s_cselect_b32 s1, s24, s18
	s_xor_b32 s1, s1, s19
	s_sub_i32 s1, s1, s19
	s_mul_i32 s9, s1, s9
	s_ashr_i32 s19, s9, 31
	s_add_u32 s18, s10, s9
	s_waitcnt lgkmcnt(0)
	s_mul_i32 s9, s33, s39
	s_mul_hi_u32 s10, s33, s38
	s_addc_u32 s19, s11, s19
	s_add_i32 s9, s10, s9
	s_mul_i32 s8, s8, s38
	s_add_i32 s9, s9, s8
	s_mul_i32 s8, s33, s38
	s_add_u32 s8, s12, s8
	s_mul_i32 s1, s1, s27
	v_lshrrev_b32_e32 v0, 3, v8
	s_addc_u32 s9, s13, s9
	s_ashr_i32 s10, s1, 31
	v_lshl_add_u32 v2, v3, 2, v0
	v_and_b32_e32 v0, 28, v23
	s_add_u32 s1, s8, s1
	v_lshlrev_b32_e32 v4, 2, v0
	s_movk_i32 s8, 0x90
	v_mad_u32_u24 v6, v2, s8, v4
	v_mul_lo_u32 v4, s15, v2
	v_mov_b32_e32 v2, 0x8010
	v_mad_u32_u24 v37, v8, s8, v2
	v_mov_b32_e32 v2, 0x8020
	v_mad_u32_u24 v38, v8, s8, v2
	;; [unrolled: 2-line block ×7, first 2 shown]
	v_lshlrev_b32_e32 v11, 2, v23
	v_mul_lo_u32 v2, s14, v3
	v_lshlrev_b32_e32 v36, 11, v3
	v_lshl_add_u32 v12, v3, 10, v11
	v_ashrrev_i32_e32 v3, 31, v2
	s_addc_u32 s10, s9, s10
	v_lshlrev_b64 v[2:3], 2, v[2:3]
	v_mov_b32_e32 v10, 0x8000
	v_mov_b32_e32 v13, s10
	v_add_co_u32_e32 v2, vcc, s1, v2
	v_add_u32_e32 v25, 0x8000, v6
	v_add_u32_e32 v34, 0xa400, v6
	v_lshl_add_u32 v6, s15, 6, v4
	v_mad_u32_u24 v35, v8, s8, v10
	v_mad_u64_u32 v[14:15], s[8:9], v14, s26, v[8:9]
	v_addc_co_u32_e32 v3, vcc, v13, v3, vcc
	v_mov_b32_e32 v1, 0
	v_ashrrev_i32_e32 v5, 31, v4
	v_ashrrev_i32_e32 v7, 31, v6
	v_lshl_or_b32 v47, v8, 3, v10
	s_add_u32 s8, s4, 0xd0
	v_add_co_u32_e32 v48, vcc, v2, v11
	v_mov_b32_e32 v10, 0xfeffffff
	v_add_u32_e32 v44, 0xc800, v16
	v_add_u32_e32 v45, 0x8000, v12
	;; [unrolled: 1-line block ×3, first 2 shown]
	s_addc_u32 s9, s5, 0
	s_mov_b32 s1, s0
	v_addc_co_u32_e32 v49, vcc, 0, v3, vcc
	v_lshlrev_b64 v[16:17], 2, v[4:5]
	v_lshlrev_b32_e32 v50, 2, v0
	v_lshlrev_b64 v[18:19], 2, v[6:7]
	s_mov_b32 s12, 0x3f200000
	s_mov_b32 s13, 0x3fb8aa3b
	;; [unrolled: 1-line block ×4, first 2 shown]
	v_mov_b32_e32 v51, 0xbd5c1c4e
	v_mov_b32_e32 v52, 0x3e088382
	;; [unrolled: 1-line block ×3, first 2 shown]
	s_brev_b32 s26, -2
	v_mbcnt_hi_u32_b32 v15, -1, v26
	v_mov_b32_e32 v54, 0x7f800000
	v_mov_b32_e32 v59, 0
	;; [unrolled: 1-line block ×19, first 2 shown]
	s_branch .LBB26_10
.LBB26_9:                               ;   in Loop: Header=BB26_10 Depth=1
	s_or_b64 exec, exec, s[10:11]
	v_cvt_f32_f16_e32 v82, v29
	v_cvt_f32_f16_e32 v83, v68
	;; [unrolled: 1-line block ×4, first 2 shown]
	v_bfi_b32 v69, s26, v78, v32
	v_bfi_b32 v68, s26, v77, v3
	;; [unrolled: 1-line block ×4, first 2 shown]
	v_pk_fma_f32 v[68:69], v[68:69], s[0:1], v[82:83]
	v_fmac_f32_e32 v29, s0, v3
	v_fmac_f32_e32 v27, s0, v32
	v_add_f32_e32 v33, 0x40051340, v68
	v_add_f32_e32 v61, 0x40051340, v69
	;; [unrolled: 1-line block ×4, first 2 shown]
	v_max3_f32 v33, v11, v33, v61
	v_max3_f32 v3, v33, v3, v32
	ds_bpermute_b32 v32, v70, v3
	v_mov_b32_e32 v33, v11
	s_mul_hi_i32 s11, s6, s14
	s_mul_i32 s10, s6, s14
	s_lshl_b64 s[10:11], s[10:11], 2
	s_waitcnt lgkmcnt(0)
	v_max_f32_e32 v32, v32, v32
	v_max_f32_e32 v3, v3, v32
	ds_bpermute_b32 v32, v71, v3
	s_waitcnt lgkmcnt(0)
	s_barrier
	v_max_f32_e32 v32, v32, v32
	v_max_f32_e32 v3, v3, v32
	ds_bpermute_b32 v32, v72, v3
	s_waitcnt lgkmcnt(0)
	v_max_f32_e32 v32, v32, v32
	v_max_f32_e32 v3, v3, v32
	ds_bpermute_b32 v61, v75, v3
	v_mov_b32_e32 v32, v10
	s_waitcnt lgkmcnt(0)
	v_max_f32_e32 v10, v61, v61
	v_max_f32_e32 v3, v3, v10
	ds_bpermute_b32 v11, v76, v3
	v_max_f32_e32 v10, v74, v74
	v_max_f32_e32 v61, v73, v73
	;; [unrolled: 1-line block ×3, first 2 shown]
	s_waitcnt lgkmcnt(0)
	v_max_f32_e32 v11, v11, v11
	v_max_f32_e32 v11, v3, v11
	v_pk_add_f32 v[30:31], v[30:31], v[10:11] op_sel_hi:[1,0] neg_lo:[0,1] neg_hi:[0,1]
	v_mul_f32_e32 v3, 0x3fb8aa3b, v31
	v_fma_f32 v61, v31, s13, -v3
	v_rndne_f32_e32 v70, v3
	v_fmac_f32_e32 v61, 0x32a5705f, v31
	v_sub_f32_e32 v3, v3, v70
	v_add_f32_e32 v3, v3, v61
	v_cvt_i32_f32_e32 v70, v70
	v_exp_f32_e32 v3, v3
	v_mul_f32_e32 v61, 0x3fb8aa3b, v30
	v_fma_f32 v71, v30, s13, -v61
	v_fmac_f32_e32 v71, 0x32a5705f, v30
	v_ldexp_f32 v3, v3, v70
	v_rndne_f32_e32 v70, v61
	v_sub_f32_e32 v61, v61, v70
	v_add_f32_e32 v61, v61, v71
	v_exp_f32_e32 v61, v61
	v_cvt_i32_f32_e32 v70, v70
	v_cmp_ngt_f32_e32 vcc, s24, v31
	v_pk_add_f32 v[28:29], v[28:29], v[10:11] neg_lo:[0,1] neg_hi:[0,1]
	v_cndmask_b32_e32 v3, 0, v3, vcc
	v_cmp_nlt_f32_e32 vcc, s25, v31
	v_mul_f32_e32 v31, 0x3fb8aa3b, v29
	v_cndmask_b32_e32 v72, v54, v3, vcc
	v_ldexp_f32 v3, v61, v70
	v_fma_f32 v61, v29, s13, -v31
	v_rndne_f32_e32 v70, v31
	v_fmac_f32_e32 v61, 0x32a5705f, v29
	v_sub_f32_e32 v31, v31, v70
	v_add_f32_e32 v31, v31, v61
	v_exp_f32_e32 v31, v31
	v_cvt_i32_f32_e32 v61, v70
	v_cmp_ngt_f32_e32 vcc, s24, v30
	v_cndmask_b32_e32 v3, 0, v3, vcc
	v_cmp_nlt_f32_e32 vcc, s25, v30
	v_ldexp_f32 v31, v31, v61
	v_mul_f32_e32 v61, 0x3fb8aa3b, v28
	v_fma_f32 v70, v28, s13, -v61
	v_rndne_f32_e32 v71, v61
	v_fmac_f32_e32 v70, 0x32a5705f, v28
	v_sub_f32_e32 v61, v61, v71
	v_add_f32_e32 v61, v61, v70
	v_exp_f32_e32 v61, v61
	v_cvt_i32_f32_e32 v70, v71
	v_cndmask_b32_e32 v30, v54, v3, vcc
	v_cmp_ngt_f32_e32 vcc, s24, v29
	v_cndmask_b32_e32 v31, 0, v31, vcc
	v_cmp_nlt_f32_e32 vcc, s25, v29
	v_ldexp_f32 v29, v61, v70
	v_mov_b32_e32 v70, v11
	v_pk_add_f32 v[68:69], v[68:69], v[70:71] op_sel_hi:[1,0] neg_lo:[0,1] neg_hi:[0,1]
	v_cndmask_b32_e32 v75, v54, v31, vcc
	v_mul_f32_e32 v31, 0x3fb8aa3b, v69
	v_fma_f32 v61, v69, s13, -v31
	v_rndne_f32_e32 v70, v31
	v_fmac_f32_e32 v61, 0x32a5705f, v69
	v_sub_f32_e32 v31, v31, v70
	v_add_f32_e32 v31, v31, v61
	v_exp_f32_e32 v31, v31
	v_cvt_i32_f32_e32 v61, v70
	v_cmp_ngt_f32_e32 vcc, s24, v28
	v_cndmask_b32_e32 v29, 0, v29, vcc
	v_cmp_nlt_f32_e32 vcc, s25, v28
	v_cndmask_b32_e32 v74, v54, v29, vcc
	v_mul_f32_e32 v29, 0x3fb8aa3b, v68
	v_ldexp_f32 v28, v31, v61
	v_fma_f32 v31, v68, s13, -v29
	v_rndne_f32_e32 v61, v29
	v_fmac_f32_e32 v31, 0x32a5705f, v68
	v_sub_f32_e32 v29, v29, v61
	v_add_f32_e32 v29, v29, v31
	v_exp_f32_e32 v29, v29
	v_cvt_i32_f32_e32 v31, v61
	v_cmp_ngt_f32_e32 vcc, s24, v69
	v_cndmask_b32_e32 v28, 0, v28, vcc
	v_cmp_nlt_f32_e32 vcc, s25, v69
	v_pk_add_f32 v[76:77], v[26:27], v[10:11] neg_lo:[0,1] neg_hi:[0,1]
	v_cndmask_b32_e32 v73, v54, v28, vcc
	v_ldexp_f32 v28, v29, v31
	v_cmp_ngt_f32_e32 vcc, s24, v68
	v_mul_f32_e32 v26, 0x3fb8aa3b, v77
	v_cndmask_b32_e32 v28, 0, v28, vcc
	v_cmp_nlt_f32_e32 vcc, s25, v68
	v_rndne_f32_e32 v83, v26
	v_cndmask_b32_e32 v31, v54, v28, vcc
	v_fma_f32 v82, v77, s13, -v26
	v_sub_f32_e32 v84, v26, v83
	v_mov_b32_e32 v26, s11
	v_add_co_u32_e32 v78, vcc, s10, v48
	v_addc_co_u32_e32 v79, vcc, v49, v26, vcc
	global_load_dwordx4 v[26:29], v[78:79], off
	global_load_dwordx4 v[68:71], v[78:79], off offset:512
	v_fmac_f32_e32 v82, 0x32a5705f, v77
	v_add_f32_e32 v78, v84, v82
	v_exp_f32_e32 v78, v78
	v_cvt_i32_f32_e32 v79, v83
	v_cvt_f16_f32_e32 v61, v75
	v_cvt_f16_f32_e32 v81, v74
	v_cmp_ngt_f32_e32 vcc, s24, v77
	v_ldexp_f32 v78, v78, v79
	v_mul_f32_e32 v79, 0x3fb8aa3b, v76
	v_pack_b32_f16 v61, v81, v61
	v_fma_f32 v81, v76, s13, -v79
	v_rndne_f32_e32 v84, v79
	v_fmac_f32_e32 v81, 0x32a5705f, v76
	v_sub_f32_e32 v79, v79, v84
	v_add_f32_e32 v79, v79, v81
	v_exp_f32_e32 v79, v79
	v_cvt_i32_f32_e32 v81, v84
	v_pk_add_f32 v[32:33], v[32:33], v[10:11] neg_lo:[0,1] neg_hi:[0,1]
	v_cvt_f16_f32_e32 v3, v30
	v_cvt_f16_f32_e32 v80, v72
	v_cvt_f16_f32_e32 v82, v31
	v_cndmask_b32_e32 v78, 0, v78, vcc
	v_cmp_nlt_f32_e32 vcc, s25, v77
	v_pk_add_f32 v[30:31], v[30:31], v[72:73]
	v_mul_f32_e32 v72, 0x3fb8aa3b, v33
	v_cvt_f16_f32_e32 v83, v73
	v_cndmask_b32_e32 v77, v54, v78, vcc
	v_ldexp_f32 v78, v79, v81
	v_cmp_ngt_f32_e32 vcc, s24, v76
	v_pk_add_f32 v[30:31], v[74:75], v[30:31]
	v_fma_f32 v73, v33, s13, -v72
	v_rndne_f32_e32 v74, v72
	v_cndmask_b32_e32 v78, 0, v78, vcc
	v_cmp_nlt_f32_e32 vcc, s25, v76
	v_fmac_f32_e32 v73, 0x32a5705f, v33
	v_sub_f32_e32 v72, v72, v74
	v_cndmask_b32_e32 v76, v54, v78, vcc
	v_add_f32_e32 v72, v72, v73
	v_cvt_i32_f32_e32 v73, v74
	v_mul_f32_e32 v74, 0x3fb8aa3b, v32
	v_cvt_f16_f32_e32 v78, v76
	v_pk_add_f32 v[30:31], v[76:77], v[30:31]
	v_fma_f32 v75, v32, s13, -v74
	v_rndne_f32_e32 v76, v74
	v_fmac_f32_e32 v75, 0x32a5705f, v32
	v_sub_f32_e32 v74, v74, v76
	v_exp_f32_e32 v72, v72
	v_add_f32_e32 v74, v74, v75
	v_exp_f32_e32 v74, v74
	v_cvt_i32_f32_e32 v75, v76
	v_ldexp_f32 v72, v72, v73
	v_cmp_ngt_f32_e32 vcc, s24, v33
	v_cndmask_b32_e32 v72, 0, v72, vcc
	v_ldexp_f32 v73, v74, v75
	v_cmp_ngt_f32_e32 vcc, s24, v32
	v_cndmask_b32_e32 v73, 0, v73, vcc
	v_cmp_nlt_f32_e32 vcc, s25, v32
	v_cndmask_b32_e32 v32, v54, v73, vcc
	v_cvt_f16_f32_e32 v76, v32
	v_cmp_nlt_f32_e32 vcc, s25, v33
	v_cndmask_b32_e32 v33, v54, v72, vcc
	v_cvt_f16_f32_e32 v79, v33
	v_pk_mul_f16 v81, v76, v6 op_sel_hi:[0,1]
	v_cvt_f16_f32_e32 v6, v77
	v_pk_fma_f32 v[12:13], v[12:13], v[32:33], v[30:31]
	v_pk_mul_f16 v84, v79, v2 op_sel_hi:[0,1]
	v_pk_mul_f16 v86, v79, v0 op_sel_hi:[0,1]
	;; [unrolled: 1-line block ×3, first 2 shown]
	v_add_u32_e32 v0, v44, v23
	v_pack_b32_f16 v1, v3, v82
	v_pack_b32_f16 v2, v80, v83
	ds_write2_b32 v0, v1, v2 offset1:32
	v_pack_b32_f16 v1, v78, v6
	v_pk_mul_f16 v77, v79, v4 op_sel_hi:[0,1]
	v_pk_mul_f16 v85, v79, v7 op_sel_hi:[0,1]
	;; [unrolled: 1-line block ×3, first 2 shown]
	ds_write2_b32 v0, v61, v1 offset0:64 offset1:96
	s_waitcnt vmcnt(1)
	ds_write_b128 v45, v[26:29]
	s_waitcnt vmcnt(0)
	ds_write_b128 v46, v[68:71]
	s_waitcnt lgkmcnt(0)
	s_barrier
	ds_read2_b64 v[26:29], v47 offset1:32
	ds_read_b128 v[30:33], v44
	ds_read2_b64 v[68:71], v47 offset0:64 offset1:96
	ds_read_b128 v[72:75], v44 offset:16
	ds_read_b128 v[4:7], v44 offset:32
	;; [unrolled: 1-line block ×3, first 2 shown]
	s_waitcnt lgkmcnt(4)
	v_pk_mul_f16 v61, v26, v30 op_sel_hi:[1,0]
	v_pk_mul_f16 v26, v26, v30 op_sel:[0,1]
	v_pk_mul_f16 v60, v76, v60 op_sel_hi:[0,1]
	v_pk_mul_f16 v24, v76, v24 op_sel_hi:[0,1]
	;; [unrolled: 1-line block ×5, first 2 shown]
	v_pk_fma_f16 v55, v79, v55, v26 op_sel_hi:[0,1,1]
	v_pk_mul_f16 v26, v27, v30 op_sel_hi:[1,0]
	v_pk_mul_f16 v20, v76, v20 op_sel_hi:[0,1]
	v_pk_fma_f16 v61, v76, v59, v61 op_sel_hi:[0,1,1]
	v_pk_fma_f16 v22, v76, v22, v26 op_sel_hi:[0,1,1]
	v_pk_fma_f16 v76, v27, v30, v77 op_sel:[0,1,0]
	v_pk_fma_f16 v60, v28, v30, v60 op_sel_hi:[1,0,1]
	v_pk_fma_f16 v77, v28, v30, v56 op_sel:[0,1,0]
	;; [unrolled: 2-line block ×3, first 2 shown]
	s_waitcnt lgkmcnt(3)
	v_pk_fma_f16 v79, v68, v30, v58 op_sel_hi:[1,0,1]
	v_pk_fma_f16 v80, v70, v30, v57 op_sel_hi:[1,0,1]
	ds_read2_b64 v[26:29], v47 offset0:128 offset1:160
	ds_read2_b64 v[56:59], v47 offset0:192 offset1:224
	v_pk_fma_f16 v20, v69, v30, v20 op_sel_hi:[1,0,1]
	v_pk_fma_f16 v68, v68, v30, v85 op_sel:[0,1,0]
	v_pk_fma_f16 v69, v69, v30, v86 op_sel:[0,1,0]
	;; [unrolled: 1-line block ×3, first 2 shown]
	v_pk_fma_f16 v81, v71, v30, v81 op_sel_hi:[1,0,1]
	v_pk_fma_f16 v30, v71, v30, v88 op_sel:[0,1,0]
	s_waitcnt lgkmcnt(1)
	v_pk_fma_f16 v71, v27, v31, v76 op_sel:[0,1,0]
	v_pk_fma_f16 v76, v28, v31, v77 op_sel:[0,1,0]
	;; [unrolled: 1-line block ×3, first 2 shown]
	s_waitcnt lgkmcnt(0)
	v_pk_fma_f16 v78, v56, v31, v79 op_sel_hi:[1,0,1]
	v_pk_fma_f16 v79, v57, v31, v20 op_sel_hi:[1,0,1]
	v_add_u32_e32 v20, 0x800, v47
	v_pk_fma_f16 v61, v26, v31, v61 op_sel_hi:[1,0,1]
	v_pk_fma_f16 v55, v26, v31, v55 op_sel:[0,1,0]
	v_pk_fma_f16 v22, v27, v31, v22 op_sel_hi:[1,0,1]
	v_pk_fma_f16 v60, v28, v31, v60 op_sel_hi:[1,0,1]
	;; [unrolled: 1-line block ×3, first 2 shown]
	ds_read2_b64 v[26:29], v20 offset1:32
	v_pk_fma_f16 v68, v56, v31, v68 op_sel:[0,1,0]
	v_pk_fma_f16 v69, v57, v31, v69 op_sel:[0,1,0]
	v_pk_fma_f16 v80, v58, v31, v80 op_sel_hi:[1,0,1]
	v_pk_fma_f16 v70, v58, v31, v70 op_sel:[0,1,0]
	v_pk_fma_f16 v81, v59, v31, v81 op_sel_hi:[1,0,1]
	v_pk_fma_f16 v30, v59, v31, v30 op_sel:[0,1,0]
	ds_read2_b64 v[56:59], v20 offset0:64 offset1:96
	s_waitcnt lgkmcnt(1)
	v_pk_fma_f16 v31, v26, v32, v61 op_sel_hi:[1,0,1]
	v_pk_fma_f16 v55, v26, v32, v55 op_sel:[0,1,0]
	v_pk_fma_f16 v22, v27, v32, v22 op_sel_hi:[1,0,1]
	v_pk_fma_f16 v61, v27, v32, v71 op_sel:[0,1,0]
	;; [unrolled: 2-line block ×4, first 2 shown]
	ds_read2_b64 v[26:29], v20 offset0:128 offset1:160
	s_waitcnt lgkmcnt(1)
	v_pk_fma_f16 v77, v56, v32, v78 op_sel_hi:[1,0,1]
	v_pk_fma_f16 v68, v56, v32, v68 op_sel:[0,1,0]
	v_pk_fma_f16 v78, v57, v32, v79 op_sel_hi:[1,0,1]
	v_pk_fma_f16 v69, v57, v32, v69 op_sel:[0,1,0]
	;; [unrolled: 2-line block ×4, first 2 shown]
	ds_read2_b64 v[56:59], v20 offset0:192 offset1:224
	s_waitcnt lgkmcnt(1)
	v_pk_fma_f16 v82, v29, v33, v24 op_sel_hi:[1,0,1]
	v_add_u32_e32 v24, 0x1000, v47
	v_pk_fma_f16 v81, v26, v33, v31 op_sel_hi:[1,0,1]
	v_pk_fma_f16 v55, v26, v33, v55 op_sel:[0,1,0]
	v_pk_fma_f16 v22, v27, v33, v22 op_sel_hi:[1,0,1]
	v_pk_fma_f16 v61, v27, v33, v61 op_sel:[0,1,0]
	;; [unrolled: 2-line block ×3, first 2 shown]
	v_pk_fma_f16 v76, v29, v33, v76 op_sel:[0,1,0]
	ds_read2_b64 v[26:29], v24 offset1:32
	s_waitcnt lgkmcnt(1)
	v_pk_fma_f16 v77, v56, v33, v77 op_sel_hi:[1,0,1]
	v_pk_fma_f16 v56, v56, v33, v68 op_sel:[0,1,0]
	v_pk_fma_f16 v68, v57, v33, v78 op_sel_hi:[1,0,1]
	v_pk_fma_f16 v57, v57, v33, v69 op_sel:[0,1,0]
	v_pk_fma_f16 v69, v58, v33, v79 op_sel_hi:[1,0,1]
	v_pk_fma_f16 v58, v58, v33, v70 op_sel:[0,1,0]
	v_pk_fma_f16 v70, v59, v33, v80 op_sel_hi:[1,0,1]
	v_pk_fma_f16 v59, v59, v33, v30 op_sel:[0,1,0]
	ds_read2_b64 v[30:33], v24 offset0:64 offset1:96
	s_waitcnt lgkmcnt(1)
	v_pk_fma_f16 v78, v26, v72, v81 op_sel_hi:[1,0,1]
	v_pk_fma_f16 v55, v26, v72, v55 op_sel:[0,1,0]
	v_pk_fma_f16 v22, v27, v72, v22 op_sel_hi:[1,0,1]
	v_pk_fma_f16 v61, v27, v72, v61 op_sel:[0,1,0]
	v_pk_fma_f16 v60, v28, v72, v60 op_sel_hi:[1,0,1]
	v_pk_fma_f16 v71, v28, v72, v71 op_sel:[0,1,0]
	v_pk_fma_f16 v79, v29, v72, v82 op_sel_hi:[1,0,1]
	v_pk_fma_f16 v76, v29, v72, v76 op_sel:[0,1,0]
	ds_read2_b64 v[26:29], v24 offset0:128 offset1:160
	;; [unrolled: 10-line block ×3, first 2 shown]
	s_waitcnt lgkmcnt(1)
	v_pk_fma_f16 v72, v26, v73, v78 op_sel_hi:[1,0,1]
	v_pk_fma_f16 v55, v26, v73, v55 op_sel:[0,1,0]
	v_add_u32_e32 v26, 0x1800, v47
	v_pk_fma_f16 v22, v27, v73, v22 op_sel_hi:[1,0,1]
	v_pk_fma_f16 v27, v27, v73, v61 op_sel:[0,1,0]
	v_pk_fma_f16 v60, v28, v73, v60 op_sel_hi:[1,0,1]
	v_pk_fma_f16 v61, v28, v73, v71 op_sel:[0,1,0]
	;; [unrolled: 2-line block ×3, first 2 shown]
	s_waitcnt lgkmcnt(0)
	v_pk_fma_f16 v77, v30, v73, v77 op_sel_hi:[1,0,1]
	v_pk_fma_f16 v78, v30, v73, v56 op_sel:[0,1,0]
	v_pk_fma_f16 v68, v31, v73, v68 op_sel_hi:[1,0,1]
	v_pk_fma_f16 v79, v31, v73, v57 op_sel:[0,1,0]
	ds_read2_b64 v[28:31], v26 offset1:32
	v_pk_fma_f16 v69, v32, v73, v69 op_sel_hi:[1,0,1]
	v_pk_fma_f16 v32, v32, v73, v58 op_sel:[0,1,0]
	v_pk_fma_f16 v70, v33, v73, v70 op_sel_hi:[1,0,1]
	v_pk_fma_f16 v33, v33, v73, v59 op_sel:[0,1,0]
	ds_read2_b64 v[56:59], v26 offset0:64 offset1:96
	s_waitcnt lgkmcnt(1)
	v_pk_fma_f16 v72, v28, v74, v72 op_sel_hi:[1,0,1]
	v_pk_fma_f16 v55, v28, v74, v55 op_sel:[0,1,0]
	v_pk_fma_f16 v22, v29, v74, v22 op_sel_hi:[1,0,1]
	v_pk_fma_f16 v27, v29, v74, v27 op_sel:[0,1,0]
	;; [unrolled: 2-line block ×4, first 2 shown]
	ds_read2_b64 v[28:31], v26 offset0:128 offset1:160
	s_waitcnt lgkmcnt(1)
	v_pk_fma_f16 v76, v56, v74, v77 op_sel_hi:[1,0,1]
	v_pk_fma_f16 v77, v56, v74, v78 op_sel:[0,1,0]
	v_pk_fma_f16 v68, v57, v74, v68 op_sel_hi:[1,0,1]
	v_pk_fma_f16 v78, v57, v74, v79 op_sel:[0,1,0]
	;; [unrolled: 2-line block ×4, first 2 shown]
	s_waitcnt lgkmcnt(0)
	v_pk_fma_f16 v74, v29, v75, v27 op_sel:[0,1,0]
	v_add_u32_e32 v27, 0x2000, v47
	v_pk_fma_f16 v72, v28, v75, v72 op_sel_hi:[1,0,1]
	v_pk_fma_f16 v55, v28, v75, v55 op_sel:[0,1,0]
	v_pk_fma_f16 v22, v29, v75, v22 op_sel_hi:[1,0,1]
	v_pk_fma_f16 v60, v30, v75, v60 op_sel_hi:[1,0,1]
	v_pk_fma_f16 v61, v30, v75, v61 op_sel:[0,1,0]
	v_pk_fma_f16 v71, v31, v75, v71 op_sel_hi:[1,0,1]
	v_pk_fma_f16 v73, v31, v75, v73 op_sel:[0,1,0]
	ds_read2_b64 v[28:31], v27 offset1:32
	ds_read2_b64 v[56:59], v26 offset0:192 offset1:224
	s_or_b32 s10, s6, 16
	s_mul_hi_i32 s11, s10, s14
	s_mul_i32 s10, s10, s14
	s_waitcnt lgkmcnt(1)
	v_pk_fma_f16 v72, v28, v4, v72 op_sel_hi:[1,0,1]
	v_pk_fma_f16 v55, v28, v4, v55 op_sel:[0,1,0]
	v_pk_fma_f16 v22, v29, v4, v22 op_sel_hi:[1,0,1]
	v_pk_fma_f16 v74, v29, v4, v74 op_sel:[0,1,0]
	;; [unrolled: 2-line block ×4, first 2 shown]
	ds_read2_b64 v[28:31], v27 offset0:128 offset1:160
	s_waitcnt lgkmcnt(1)
	v_pk_fma_f16 v76, v56, v75, v76 op_sel_hi:[1,0,1]
	v_pk_fma_f16 v77, v56, v75, v77 op_sel:[0,1,0]
	v_pk_fma_f16 v68, v57, v75, v68 op_sel_hi:[1,0,1]
	v_pk_fma_f16 v78, v57, v75, v78 op_sel:[0,1,0]
	;; [unrolled: 2-line block ×4, first 2 shown]
	ds_read2_b64 v[56:59], v27 offset0:64 offset1:96
	s_waitcnt lgkmcnt(1)
	v_pk_fma_f16 v72, v28, v5, v72 op_sel_hi:[1,0,1]
	v_pk_fma_f16 v55, v28, v5, v55 op_sel:[0,1,0]
	v_add_u32_e32 v28, 0x2800, v47
	v_pk_fma_f16 v60, v30, v5, v60 op_sel_hi:[1,0,1]
	s_waitcnt lgkmcnt(0)
	v_pk_fma_f16 v75, v56, v4, v76 op_sel_hi:[1,0,1]
	v_pk_fma_f16 v76, v56, v4, v77 op_sel:[0,1,0]
	v_pk_fma_f16 v68, v57, v4, v68 op_sel_hi:[1,0,1]
	v_pk_fma_f16 v77, v57, v4, v78 op_sel:[0,1,0]
	;; [unrolled: 2-line block ×4, first 2 shown]
	ds_read2_b64 v[56:59], v27 offset0:192 offset1:224
	v_pk_fma_f16 v61, v30, v5, v61 op_sel:[0,1,0]
	v_pk_fma_f16 v71, v31, v5, v71 op_sel_hi:[1,0,1]
	v_pk_fma_f16 v73, v31, v5, v73 op_sel:[0,1,0]
	ds_read2_b64 v[30:33], v28 offset1:32
	v_pk_fma_f16 v22, v29, v5, v22 op_sel_hi:[1,0,1]
	v_pk_fma_f16 v29, v29, v5, v74 op_sel:[0,1,0]
	s_waitcnt lgkmcnt(1)
	v_pk_fma_f16 v74, v56, v5, v75 op_sel_hi:[1,0,1]
	v_pk_fma_f16 v75, v56, v5, v76 op_sel:[0,1,0]
	v_pk_fma_f16 v68, v57, v5, v68 op_sel_hi:[1,0,1]
	v_pk_fma_f16 v76, v57, v5, v77 op_sel:[0,1,0]
	;; [unrolled: 2-line block ×4, first 2 shown]
	ds_read2_b64 v[56:59], v28 offset0:64 offset1:96
	s_waitcnt lgkmcnt(1)
	v_pk_fma_f16 v5, v30, v6, v72 op_sel_hi:[1,0,1]
	v_pk_fma_f16 v55, v30, v6, v55 op_sel:[0,1,0]
	v_pk_fma_f16 v108, v31, v6, v22 op_sel_hi:[1,0,1]
	v_pk_fma_f16 v109, v31, v6, v29 op_sel:[0,1,0]
	;; [unrolled: 2-line block ×4, first 2 shown]
	ds_read2_b64 v[30:33], v28 offset0:128 offset1:160
	s_lshl_b64 s[10:11], s[10:11], 2
	s_waitcnt lgkmcnt(1)
	v_pk_fma_f16 v112, v56, v6, v74 op_sel_hi:[1,0,1]
	v_pk_fma_f16 v113, v56, v6, v75 op_sel:[0,1,0]
	v_pk_fma_f16 v114, v57, v6, v68 op_sel_hi:[1,0,1]
	v_pk_fma_f16 v115, v57, v6, v76 op_sel:[0,1,0]
	;; [unrolled: 2-line block ×4, first 2 shown]
	s_waitcnt lgkmcnt(0)
	v_pk_fma_f16 v119, v30, v7, v5 op_sel_hi:[1,0,1]
	v_mov_b32_e32 v5, s11
	v_add_co_u32_e32 v4, vcc, s10, v48
	v_add_u32_e32 v29, 0x3000, v47
	v_add_u32_e32 v22, 0x3800, v47
	v_addc_co_u32_e32 v5, vcc, v49, v5, vcc
	ds_read2_b64 v[56:59], v28 offset0:192 offset1:224
	ds_read2_b64 v[68:71], v29 offset1:32
	ds_read2_b64 v[72:75], v29 offset0:64 offset1:96
	ds_read2_b64 v[76:79], v29 offset0:128 offset1:160
	;; [unrolled: 1-line block ×3, first 2 shown]
	ds_read2_b64 v[84:87], v22 offset1:32
	ds_read2_b64 v[88:91], v22 offset0:64 offset1:96
	ds_read2_b64 v[92:95], v22 offset0:128 offset1:160
	;; [unrolled: 1-line block ×3, first 2 shown]
	s_waitcnt lgkmcnt(0)
	s_barrier
	global_load_dwordx4 v[100:103], v[4:5], off
	global_load_dwordx4 v[104:107], v[4:5], off offset:512
	v_pk_fma_f16 v30, v30, v7, v55 op_sel:[0,1,0]
	v_pk_fma_f16 v4, v31, v7, v108 op_sel_hi:[1,0,1]
	v_pk_fma_f16 v5, v31, v7, v109 op_sel:[0,1,0]
	v_pk_fma_f16 v31, v32, v7, v60 op_sel_hi:[1,0,1]
	;; [unrolled: 2-line block ×39, first 2 shown]
	v_pk_fma_f16 v88, v99, v3, v0 op_sel:[0,1,0]
	s_waitcnt vmcnt(1)
	ds_write_b128 v45, v[100:103]
	s_waitcnt vmcnt(0)
	ds_write_b128 v46, v[104:107]
	s_waitcnt lgkmcnt(0)
	s_barrier
	ds_read2_b64 v[30:33], v47 offset1:32
	ds_read_b128 v[56:59], v44 offset:64
	ds_read2_b64 v[68:71], v47 offset0:64 offset1:96
	ds_read_b128 v[72:75], v44 offset:80
	ds_read_b128 v[4:7], v44 offset:96
	;; [unrolled: 1-line block ×3, first 2 shown]
	s_waitcnt lgkmcnt(4)
	v_pk_fma_f16 v61, v30, v56, v61 op_sel_hi:[1,0,1]
	v_pk_fma_f16 v76, v30, v56, v76 op_sel:[0,1,0]
	v_pk_fma_f16 v77, v31, v56, v77 op_sel_hi:[1,0,1]
	v_pk_fma_f16 v78, v31, v56, v78 op_sel:[0,1,0]
	v_pk_fma_f16 v79, v32, v56, v79 op_sel_hi:[1,0,1]
	v_pk_fma_f16 v80, v32, v56, v80 op_sel:[0,1,0]
	v_pk_fma_f16 v81, v33, v56, v81 op_sel_hi:[1,0,1]
	v_pk_fma_f16 v82, v33, v56, v82 op_sel:[0,1,0]
	ds_read2_b64 v[30:33], v47 offset0:128 offset1:160
	s_waitcnt lgkmcnt(4)
	v_pk_fma_f16 v83, v68, v56, v83 op_sel_hi:[1,0,1]
	v_pk_fma_f16 v55, v68, v56, v55 op_sel:[0,1,0]
	v_pk_fma_f16 v84, v69, v56, v84 op_sel_hi:[1,0,1]
	v_pk_fma_f16 v85, v69, v56, v85 op_sel:[0,1,0]
	v_pk_fma_f16 v86, v70, v56, v86 op_sel_hi:[1,0,1]
	v_pk_fma_f16 v87, v70, v56, v87 op_sel:[0,1,0]
	v_pk_fma_f16 v60, v71, v56, v60 op_sel_hi:[1,0,1]
	v_pk_fma_f16 v56, v71, v56, v88 op_sel:[0,1,0]
	ds_read2_b64 v[68:71], v47 offset0:192 offset1:224
	s_waitcnt lgkmcnt(1)
	v_pk_fma_f16 v61, v30, v57, v61 op_sel_hi:[1,0,1]
	v_pk_fma_f16 v76, v30, v57, v76 op_sel:[0,1,0]
	v_pk_fma_f16 v77, v31, v57, v77 op_sel_hi:[1,0,1]
	v_pk_fma_f16 v78, v31, v57, v78 op_sel:[0,1,0]
	v_pk_fma_f16 v79, v32, v57, v79 op_sel_hi:[1,0,1]
	v_pk_fma_f16 v80, v32, v57, v80 op_sel:[0,1,0]
	v_pk_fma_f16 v81, v33, v57, v81 op_sel_hi:[1,0,1]
	v_pk_fma_f16 v82, v33, v57, v82 op_sel:[0,1,0]
	ds_read2_b64 v[30:33], v20 offset1:32
	s_waitcnt lgkmcnt(1)
	v_pk_fma_f16 v83, v68, v57, v83 op_sel_hi:[1,0,1]
	v_pk_fma_f16 v55, v68, v57, v55 op_sel:[0,1,0]
	v_pk_fma_f16 v84, v69, v57, v84 op_sel_hi:[1,0,1]
	v_pk_fma_f16 v85, v69, v57, v85 op_sel:[0,1,0]
	v_pk_fma_f16 v86, v70, v57, v86 op_sel_hi:[1,0,1]
	v_pk_fma_f16 v87, v70, v57, v87 op_sel:[0,1,0]
	v_pk_fma_f16 v60, v71, v57, v60 op_sel_hi:[1,0,1]
	v_pk_fma_f16 v56, v71, v57, v56 op_sel:[0,1,0]
	ds_read2_b64 v[68:71], v20 offset0:64 offset1:96
	s_waitcnt lgkmcnt(1)
	v_pk_fma_f16 v57, v30, v58, v61 op_sel_hi:[1,0,1]
	v_pk_fma_f16 v61, v30, v58, v76 op_sel:[0,1,0]
	v_pk_fma_f16 v76, v31, v58, v77 op_sel_hi:[1,0,1]
	v_pk_fma_f16 v77, v31, v58, v78 op_sel:[0,1,0]
	v_pk_fma_f16 v78, v32, v58, v79 op_sel_hi:[1,0,1]
	v_pk_fma_f16 v79, v32, v58, v80 op_sel:[0,1,0]
	v_pk_fma_f16 v80, v33, v58, v81 op_sel_hi:[1,0,1]
	v_pk_fma_f16 v81, v33, v58, v82 op_sel:[0,1,0]
	ds_read2_b64 v[30:33], v20 offset0:128 offset1:160
	s_waitcnt lgkmcnt(1)
	v_pk_fma_f16 v82, v68, v58, v83 op_sel_hi:[1,0,1]
	v_pk_fma_f16 v55, v68, v58, v55 op_sel:[0,1,0]
	v_pk_fma_f16 v83, v69, v58, v84 op_sel_hi:[1,0,1]
	v_pk_fma_f16 v84, v69, v58, v85 op_sel:[0,1,0]
	v_pk_fma_f16 v85, v70, v58, v86 op_sel_hi:[1,0,1]
	v_pk_fma_f16 v86, v70, v58, v87 op_sel:[0,1,0]
	v_pk_fma_f16 v60, v71, v58, v60 op_sel_hi:[1,0,1]
	v_pk_fma_f16 v56, v71, v58, v56 op_sel:[0,1,0]
	ds_read2_b64 v[68:71], v20 offset0:192 offset1:224
	s_waitcnt lgkmcnt(1)
	v_pk_fma_f16 v87, v30, v59, v57 op_sel_hi:[1,0,1]
	v_pk_fma_f16 v61, v30, v59, v61 op_sel:[0,1,0]
	v_pk_fma_f16 v76, v31, v59, v76 op_sel_hi:[1,0,1]
	v_pk_fma_f16 v77, v31, v59, v77 op_sel:[0,1,0]
	v_pk_fma_f16 v78, v32, v59, v78 op_sel_hi:[1,0,1]
	v_pk_fma_f16 v79, v32, v59, v79 op_sel:[0,1,0]
	v_pk_fma_f16 v80, v33, v59, v80 op_sel_hi:[1,0,1]
	v_pk_fma_f16 v81, v33, v59, v81 op_sel:[0,1,0]
	ds_read2_b64 v[30:33], v24 offset1:32
	s_waitcnt lgkmcnt(1)
	v_pk_fma_f16 v82, v68, v59, v82 op_sel_hi:[1,0,1]
	v_pk_fma_f16 v55, v68, v59, v55 op_sel:[0,1,0]
	v_pk_fma_f16 v68, v69, v59, v83 op_sel_hi:[1,0,1]
	v_pk_fma_f16 v69, v69, v59, v84 op_sel:[0,1,0]
	v_pk_fma_f16 v83, v70, v59, v85 op_sel_hi:[1,0,1]
	v_pk_fma_f16 v70, v70, v59, v86 op_sel:[0,1,0]
	v_pk_fma_f16 v60, v71, v59, v60 op_sel_hi:[1,0,1]
	v_pk_fma_f16 v71, v71, v59, v56 op_sel:[0,1,0]
	ds_read2_b64 v[56:59], v24 offset0:64 offset1:96
	;; [unrolled: 40-line block ×5, first 2 shown]
	s_waitcnt lgkmcnt(1)
	v_pk_fma_f16 v5, v30, v6, v71 op_sel_hi:[1,0,1]
	v_pk_fma_f16 v61, v30, v6, v61 op_sel:[0,1,0]
	v_pk_fma_f16 v108, v31, v6, v72 op_sel_hi:[1,0,1]
	v_pk_fma_f16 v109, v31, v6, v73 op_sel:[0,1,0]
	;; [unrolled: 2-line block ×4, first 2 shown]
	ds_read2_b64 v[30:33], v28 offset0:128 offset1:160
	s_or_b32 s10, s6, 32
	s_mul_hi_i32 s11, s10, s14
	s_mul_i32 s10, s10, s14
	s_lshl_b64 s[10:11], s[10:11], 2
	s_waitcnt lgkmcnt(1)
	v_pk_fma_f16 v114, v56, v6, v78 op_sel_hi:[1,0,1]
	v_pk_fma_f16 v55, v56, v6, v55 op_sel:[0,1,0]
	v_pk_fma_f16 v115, v57, v6, v68 op_sel_hi:[1,0,1]
	v_pk_fma_f16 v116, v57, v6, v69 op_sel:[0,1,0]
	;; [unrolled: 2-line block ×4, first 2 shown]
	s_waitcnt lgkmcnt(0)
	v_pk_fma_f16 v119, v30, v7, v5 op_sel_hi:[1,0,1]
	v_mov_b32_e32 v5, s11
	v_add_co_u32_e32 v4, vcc, s10, v48
	v_addc_co_u32_e32 v5, vcc, v49, v5, vcc
	ds_read2_b64 v[56:59], v28 offset0:192 offset1:224
	ds_read2_b64 v[68:71], v29 offset1:32
	ds_read2_b64 v[72:75], v29 offset0:64 offset1:96
	ds_read2_b64 v[76:79], v29 offset0:128 offset1:160
	;; [unrolled: 1-line block ×3, first 2 shown]
	ds_read2_b64 v[84:87], v22 offset1:32
	ds_read2_b64 v[88:91], v22 offset0:64 offset1:96
	ds_read2_b64 v[92:95], v22 offset0:128 offset1:160
	;; [unrolled: 1-line block ×3, first 2 shown]
	s_waitcnt lgkmcnt(0)
	s_barrier
	global_load_dwordx4 v[100:103], v[4:5], off
	global_load_dwordx4 v[104:107], v[4:5], off offset:512
	v_pk_fma_f16 v30, v30, v7, v61 op_sel:[0,1,0]
	v_pk_fma_f16 v4, v31, v7, v108 op_sel_hi:[1,0,1]
	v_pk_fma_f16 v5, v31, v7, v109 op_sel:[0,1,0]
	v_pk_fma_f16 v31, v32, v7, v110 op_sel_hi:[1,0,1]
	;; [unrolled: 2-line block ×39, first 2 shown]
	v_pk_fma_f16 v88, v99, v3, v0 op_sel:[0,1,0]
	s_waitcnt vmcnt(1)
	ds_write_b128 v45, v[100:103]
	s_waitcnt vmcnt(0)
	ds_write_b128 v46, v[104:107]
	s_waitcnt lgkmcnt(0)
	s_barrier
	ds_read2_b64 v[30:33], v47 offset1:32
	ds_read_b128 v[56:59], v44 offset:128
	ds_read2_b64 v[68:71], v47 offset0:64 offset1:96
	ds_read_b128 v[72:75], v44 offset:144
	ds_read_b128 v[4:7], v44 offset:160
	;; [unrolled: 1-line block ×3, first 2 shown]
	s_waitcnt lgkmcnt(4)
	v_pk_fma_f16 v61, v30, v56, v61 op_sel_hi:[1,0,1]
	v_pk_fma_f16 v76, v30, v56, v76 op_sel:[0,1,0]
	v_pk_fma_f16 v77, v31, v56, v77 op_sel_hi:[1,0,1]
	v_pk_fma_f16 v78, v31, v56, v78 op_sel:[0,1,0]
	v_pk_fma_f16 v79, v32, v56, v79 op_sel_hi:[1,0,1]
	v_pk_fma_f16 v80, v32, v56, v80 op_sel:[0,1,0]
	v_pk_fma_f16 v81, v33, v56, v81 op_sel_hi:[1,0,1]
	v_pk_fma_f16 v82, v33, v56, v82 op_sel:[0,1,0]
	ds_read2_b64 v[30:33], v47 offset0:128 offset1:160
	s_waitcnt lgkmcnt(4)
	v_pk_fma_f16 v83, v68, v56, v83 op_sel_hi:[1,0,1]
	v_pk_fma_f16 v55, v68, v56, v55 op_sel:[0,1,0]
	v_pk_fma_f16 v84, v69, v56, v84 op_sel_hi:[1,0,1]
	v_pk_fma_f16 v85, v69, v56, v85 op_sel:[0,1,0]
	v_pk_fma_f16 v86, v70, v56, v86 op_sel_hi:[1,0,1]
	v_pk_fma_f16 v87, v70, v56, v87 op_sel:[0,1,0]
	v_pk_fma_f16 v60, v71, v56, v60 op_sel_hi:[1,0,1]
	v_pk_fma_f16 v56, v71, v56, v88 op_sel:[0,1,0]
	ds_read2_b64 v[68:71], v47 offset0:192 offset1:224
	s_waitcnt lgkmcnt(1)
	v_pk_fma_f16 v61, v30, v57, v61 op_sel_hi:[1,0,1]
	v_pk_fma_f16 v76, v30, v57, v76 op_sel:[0,1,0]
	v_pk_fma_f16 v77, v31, v57, v77 op_sel_hi:[1,0,1]
	v_pk_fma_f16 v78, v31, v57, v78 op_sel:[0,1,0]
	v_pk_fma_f16 v79, v32, v57, v79 op_sel_hi:[1,0,1]
	v_pk_fma_f16 v80, v32, v57, v80 op_sel:[0,1,0]
	v_pk_fma_f16 v81, v33, v57, v81 op_sel_hi:[1,0,1]
	v_pk_fma_f16 v82, v33, v57, v82 op_sel:[0,1,0]
	ds_read2_b64 v[30:33], v20 offset1:32
	s_waitcnt lgkmcnt(1)
	v_pk_fma_f16 v83, v68, v57, v83 op_sel_hi:[1,0,1]
	v_pk_fma_f16 v55, v68, v57, v55 op_sel:[0,1,0]
	v_pk_fma_f16 v84, v69, v57, v84 op_sel_hi:[1,0,1]
	v_pk_fma_f16 v85, v69, v57, v85 op_sel:[0,1,0]
	v_pk_fma_f16 v86, v70, v57, v86 op_sel_hi:[1,0,1]
	v_pk_fma_f16 v87, v70, v57, v87 op_sel:[0,1,0]
	v_pk_fma_f16 v60, v71, v57, v60 op_sel_hi:[1,0,1]
	v_pk_fma_f16 v56, v71, v57, v56 op_sel:[0,1,0]
	ds_read2_b64 v[68:71], v20 offset0:64 offset1:96
	s_waitcnt lgkmcnt(1)
	v_pk_fma_f16 v57, v30, v58, v61 op_sel_hi:[1,0,1]
	v_pk_fma_f16 v61, v30, v58, v76 op_sel:[0,1,0]
	v_pk_fma_f16 v76, v31, v58, v77 op_sel_hi:[1,0,1]
	v_pk_fma_f16 v77, v31, v58, v78 op_sel:[0,1,0]
	v_pk_fma_f16 v78, v32, v58, v79 op_sel_hi:[1,0,1]
	v_pk_fma_f16 v79, v32, v58, v80 op_sel:[0,1,0]
	v_pk_fma_f16 v80, v33, v58, v81 op_sel_hi:[1,0,1]
	v_pk_fma_f16 v81, v33, v58, v82 op_sel:[0,1,0]
	ds_read2_b64 v[30:33], v20 offset0:128 offset1:160
	s_waitcnt lgkmcnt(1)
	v_pk_fma_f16 v82, v68, v58, v83 op_sel_hi:[1,0,1]
	v_pk_fma_f16 v55, v68, v58, v55 op_sel:[0,1,0]
	v_pk_fma_f16 v83, v69, v58, v84 op_sel_hi:[1,0,1]
	v_pk_fma_f16 v84, v69, v58, v85 op_sel:[0,1,0]
	v_pk_fma_f16 v85, v70, v58, v86 op_sel_hi:[1,0,1]
	v_pk_fma_f16 v86, v70, v58, v87 op_sel:[0,1,0]
	v_pk_fma_f16 v60, v71, v58, v60 op_sel_hi:[1,0,1]
	v_pk_fma_f16 v56, v71, v58, v56 op_sel:[0,1,0]
	ds_read2_b64 v[68:71], v20 offset0:192 offset1:224
	s_waitcnt lgkmcnt(1)
	v_pk_fma_f16 v87, v30, v59, v57 op_sel_hi:[1,0,1]
	v_pk_fma_f16 v61, v30, v59, v61 op_sel:[0,1,0]
	v_pk_fma_f16 v76, v31, v59, v76 op_sel_hi:[1,0,1]
	v_pk_fma_f16 v77, v31, v59, v77 op_sel:[0,1,0]
	v_pk_fma_f16 v78, v32, v59, v78 op_sel_hi:[1,0,1]
	v_pk_fma_f16 v79, v32, v59, v79 op_sel:[0,1,0]
	v_pk_fma_f16 v80, v33, v59, v80 op_sel_hi:[1,0,1]
	v_pk_fma_f16 v81, v33, v59, v81 op_sel:[0,1,0]
	ds_read2_b64 v[30:33], v24 offset1:32
	s_waitcnt lgkmcnt(1)
	v_pk_fma_f16 v82, v68, v59, v82 op_sel_hi:[1,0,1]
	v_pk_fma_f16 v55, v68, v59, v55 op_sel:[0,1,0]
	v_pk_fma_f16 v68, v69, v59, v83 op_sel_hi:[1,0,1]
	v_pk_fma_f16 v69, v69, v59, v84 op_sel:[0,1,0]
	v_pk_fma_f16 v83, v70, v59, v85 op_sel_hi:[1,0,1]
	v_pk_fma_f16 v70, v70, v59, v86 op_sel:[0,1,0]
	v_pk_fma_f16 v60, v71, v59, v60 op_sel_hi:[1,0,1]
	v_pk_fma_f16 v71, v71, v59, v56 op_sel:[0,1,0]
	ds_read2_b64 v[56:59], v24 offset0:64 offset1:96
	;; [unrolled: 40-line block ×5, first 2 shown]
	s_waitcnt lgkmcnt(1)
	v_pk_fma_f16 v5, v30, v6, v71 op_sel_hi:[1,0,1]
	v_pk_fma_f16 v61, v30, v6, v61 op_sel:[0,1,0]
	v_pk_fma_f16 v108, v31, v6, v72 op_sel_hi:[1,0,1]
	v_pk_fma_f16 v109, v31, v6, v73 op_sel:[0,1,0]
	;; [unrolled: 2-line block ×4, first 2 shown]
	ds_read2_b64 v[30:33], v28 offset0:128 offset1:160
	s_or_b32 s10, s6, 48
	s_mul_hi_i32 s11, s10, s14
	s_mul_i32 s10, s10, s14
	s_lshl_b64 s[10:11], s[10:11], 2
	s_waitcnt lgkmcnt(1)
	v_pk_fma_f16 v114, v56, v6, v78 op_sel_hi:[1,0,1]
	v_pk_fma_f16 v55, v56, v6, v55 op_sel:[0,1,0]
	v_pk_fma_f16 v115, v57, v6, v68 op_sel_hi:[1,0,1]
	v_pk_fma_f16 v116, v57, v6, v69 op_sel:[0,1,0]
	;; [unrolled: 2-line block ×4, first 2 shown]
	s_waitcnt lgkmcnt(0)
	v_pk_fma_f16 v119, v30, v7, v5 op_sel_hi:[1,0,1]
	v_mov_b32_e32 v5, s11
	v_add_co_u32_e32 v4, vcc, s10, v48
	v_addc_co_u32_e32 v5, vcc, v49, v5, vcc
	ds_read2_b64 v[56:59], v28 offset0:192 offset1:224
	ds_read2_b64 v[68:71], v29 offset1:32
	ds_read2_b64 v[72:75], v29 offset0:64 offset1:96
	ds_read2_b64 v[76:79], v29 offset0:128 offset1:160
	;; [unrolled: 1-line block ×3, first 2 shown]
	ds_read2_b64 v[84:87], v22 offset1:32
	ds_read2_b64 v[88:91], v22 offset0:64 offset1:96
	ds_read2_b64 v[92:95], v22 offset0:128 offset1:160
	;; [unrolled: 1-line block ×3, first 2 shown]
	s_waitcnt lgkmcnt(0)
	s_barrier
	global_load_dwordx4 v[100:103], v[4:5], off
	global_load_dwordx4 v[104:107], v[4:5], off offset:512
	v_pk_fma_f16 v30, v30, v7, v61 op_sel:[0,1,0]
	v_pk_fma_f16 v4, v31, v7, v108 op_sel_hi:[1,0,1]
	v_pk_fma_f16 v5, v31, v7, v109 op_sel:[0,1,0]
	v_pk_fma_f16 v31, v32, v7, v110 op_sel_hi:[1,0,1]
	;; [unrolled: 2-line block ×39, first 2 shown]
	v_pk_fma_f16 v88, v99, v3, v0 op_sel:[0,1,0]
	s_waitcnt vmcnt(1)
	ds_write_b128 v45, v[100:103]
	s_waitcnt vmcnt(0)
	ds_write_b128 v46, v[104:107]
	s_waitcnt lgkmcnt(0)
	s_barrier
	ds_read2_b64 v[30:33], v47 offset1:32
	ds_read_b128 v[56:59], v44 offset:192
	ds_read2_b64 v[68:71], v47 offset0:64 offset1:96
	ds_read_b128 v[72:75], v44 offset:208
	ds_read_b128 v[4:7], v44 offset:224
	;; [unrolled: 1-line block ×3, first 2 shown]
	s_waitcnt lgkmcnt(4)
	v_pk_fma_f16 v61, v30, v56, v61 op_sel_hi:[1,0,1]
	v_pk_fma_f16 v76, v30, v56, v76 op_sel:[0,1,0]
	v_pk_fma_f16 v77, v31, v56, v77 op_sel_hi:[1,0,1]
	v_pk_fma_f16 v78, v31, v56, v78 op_sel:[0,1,0]
	v_pk_fma_f16 v79, v32, v56, v79 op_sel_hi:[1,0,1]
	v_pk_fma_f16 v80, v32, v56, v80 op_sel:[0,1,0]
	v_pk_fma_f16 v81, v33, v56, v81 op_sel_hi:[1,0,1]
	v_pk_fma_f16 v82, v33, v56, v82 op_sel:[0,1,0]
	ds_read2_b64 v[30:33], v47 offset0:128 offset1:160
	s_waitcnt lgkmcnt(4)
	v_pk_fma_f16 v83, v68, v56, v83 op_sel_hi:[1,0,1]
	v_pk_fma_f16 v55, v68, v56, v55 op_sel:[0,1,0]
	v_pk_fma_f16 v84, v69, v56, v84 op_sel_hi:[1,0,1]
	v_pk_fma_f16 v85, v69, v56, v85 op_sel:[0,1,0]
	v_pk_fma_f16 v86, v70, v56, v86 op_sel_hi:[1,0,1]
	v_pk_fma_f16 v87, v70, v56, v87 op_sel:[0,1,0]
	v_pk_fma_f16 v60, v71, v56, v60 op_sel_hi:[1,0,1]
	v_pk_fma_f16 v56, v71, v56, v88 op_sel:[0,1,0]
	ds_read2_b64 v[68:71], v47 offset0:192 offset1:224
	s_waitcnt lgkmcnt(1)
	v_pk_fma_f16 v61, v30, v57, v61 op_sel_hi:[1,0,1]
	v_pk_fma_f16 v76, v30, v57, v76 op_sel:[0,1,0]
	v_pk_fma_f16 v77, v31, v57, v77 op_sel_hi:[1,0,1]
	v_pk_fma_f16 v78, v31, v57, v78 op_sel:[0,1,0]
	v_pk_fma_f16 v79, v32, v57, v79 op_sel_hi:[1,0,1]
	v_pk_fma_f16 v80, v32, v57, v80 op_sel:[0,1,0]
	v_pk_fma_f16 v81, v33, v57, v81 op_sel_hi:[1,0,1]
	v_pk_fma_f16 v82, v33, v57, v82 op_sel:[0,1,0]
	ds_read2_b64 v[30:33], v20 offset1:32
	s_waitcnt lgkmcnt(1)
	v_pk_fma_f16 v83, v68, v57, v83 op_sel_hi:[1,0,1]
	v_pk_fma_f16 v55, v68, v57, v55 op_sel:[0,1,0]
	v_pk_fma_f16 v84, v69, v57, v84 op_sel_hi:[1,0,1]
	v_pk_fma_f16 v85, v69, v57, v85 op_sel:[0,1,0]
	v_pk_fma_f16 v86, v70, v57, v86 op_sel_hi:[1,0,1]
	v_pk_fma_f16 v87, v70, v57, v87 op_sel:[0,1,0]
	v_pk_fma_f16 v60, v71, v57, v60 op_sel_hi:[1,0,1]
	v_pk_fma_f16 v56, v71, v57, v56 op_sel:[0,1,0]
	ds_read2_b64 v[68:71], v20 offset0:64 offset1:96
	s_waitcnt lgkmcnt(1)
	v_pk_fma_f16 v57, v30, v58, v61 op_sel_hi:[1,0,1]
	v_pk_fma_f16 v61, v30, v58, v76 op_sel:[0,1,0]
	v_pk_fma_f16 v76, v31, v58, v77 op_sel_hi:[1,0,1]
	v_pk_fma_f16 v77, v31, v58, v78 op_sel:[0,1,0]
	v_pk_fma_f16 v78, v32, v58, v79 op_sel_hi:[1,0,1]
	v_pk_fma_f16 v79, v32, v58, v80 op_sel:[0,1,0]
	v_pk_fma_f16 v80, v33, v58, v81 op_sel_hi:[1,0,1]
	v_pk_fma_f16 v81, v33, v58, v82 op_sel:[0,1,0]
	ds_read2_b64 v[30:33], v20 offset0:128 offset1:160
	s_waitcnt lgkmcnt(1)
	v_pk_fma_f16 v82, v68, v58, v83 op_sel_hi:[1,0,1]
	v_pk_fma_f16 v55, v68, v58, v55 op_sel:[0,1,0]
	v_pk_fma_f16 v83, v69, v58, v84 op_sel_hi:[1,0,1]
	v_pk_fma_f16 v84, v69, v58, v85 op_sel:[0,1,0]
	v_pk_fma_f16 v85, v70, v58, v86 op_sel_hi:[1,0,1]
	v_pk_fma_f16 v86, v70, v58, v87 op_sel:[0,1,0]
	v_pk_fma_f16 v60, v71, v58, v60 op_sel_hi:[1,0,1]
	v_pk_fma_f16 v56, v71, v58, v56 op_sel:[0,1,0]
	ds_read2_b64 v[68:71], v20 offset0:192 offset1:224
	s_waitcnt lgkmcnt(1)
	v_pk_fma_f16 v87, v30, v59, v57 op_sel_hi:[1,0,1]
	v_pk_fma_f16 v61, v30, v59, v61 op_sel:[0,1,0]
	v_pk_fma_f16 v76, v31, v59, v76 op_sel_hi:[1,0,1]
	v_pk_fma_f16 v77, v31, v59, v77 op_sel:[0,1,0]
	v_pk_fma_f16 v78, v32, v59, v78 op_sel_hi:[1,0,1]
	v_pk_fma_f16 v79, v32, v59, v79 op_sel:[0,1,0]
	v_pk_fma_f16 v80, v33, v59, v80 op_sel_hi:[1,0,1]
	v_pk_fma_f16 v81, v33, v59, v81 op_sel:[0,1,0]
	ds_read2_b64 v[30:33], v24 offset1:32
	s_waitcnt lgkmcnt(1)
	v_pk_fma_f16 v82, v68, v59, v82 op_sel_hi:[1,0,1]
	v_pk_fma_f16 v55, v68, v59, v55 op_sel:[0,1,0]
	v_pk_fma_f16 v68, v69, v59, v83 op_sel_hi:[1,0,1]
	v_pk_fma_f16 v69, v69, v59, v84 op_sel:[0,1,0]
	v_pk_fma_f16 v83, v70, v59, v85 op_sel_hi:[1,0,1]
	v_pk_fma_f16 v70, v70, v59, v86 op_sel:[0,1,0]
	v_pk_fma_f16 v60, v71, v59, v60 op_sel_hi:[1,0,1]
	v_pk_fma_f16 v71, v71, v59, v56 op_sel:[0,1,0]
	ds_read2_b64 v[56:59], v24 offset0:64 offset1:96
	;; [unrolled: 40-line block ×5, first 2 shown]
	s_waitcnt lgkmcnt(1)
	v_pk_fma_f16 v5, v30, v6, v71 op_sel_hi:[1,0,1]
	v_pk_fma_f16 v61, v30, v6, v61 op_sel:[0,1,0]
	v_pk_fma_f16 v108, v31, v6, v72 op_sel_hi:[1,0,1]
	v_pk_fma_f16 v109, v31, v6, v73 op_sel:[0,1,0]
	;; [unrolled: 2-line block ×4, first 2 shown]
	ds_read2_b64 v[30:33], v28 offset0:128 offset1:160
	s_or_b32 s10, s6, 64
	s_mul_hi_i32 s11, s10, s14
	s_mul_i32 s10, s10, s14
	s_lshl_b64 s[10:11], s[10:11], 2
	s_waitcnt lgkmcnt(1)
	v_pk_fma_f16 v114, v56, v6, v78 op_sel_hi:[1,0,1]
	v_pk_fma_f16 v55, v56, v6, v55 op_sel:[0,1,0]
	v_pk_fma_f16 v115, v57, v6, v68 op_sel_hi:[1,0,1]
	v_pk_fma_f16 v116, v57, v6, v69 op_sel:[0,1,0]
	;; [unrolled: 2-line block ×4, first 2 shown]
	s_waitcnt lgkmcnt(0)
	v_pk_fma_f16 v119, v30, v7, v5 op_sel_hi:[1,0,1]
	v_mov_b32_e32 v5, s11
	v_add_co_u32_e32 v4, vcc, s10, v48
	v_addc_co_u32_e32 v5, vcc, v49, v5, vcc
	ds_read2_b64 v[56:59], v28 offset0:192 offset1:224
	ds_read2_b64 v[68:71], v29 offset1:32
	ds_read2_b64 v[72:75], v29 offset0:64 offset1:96
	ds_read2_b64 v[76:79], v29 offset0:128 offset1:160
	;; [unrolled: 1-line block ×3, first 2 shown]
	ds_read2_b64 v[84:87], v22 offset1:32
	ds_read2_b64 v[88:91], v22 offset0:64 offset1:96
	ds_read2_b64 v[92:95], v22 offset0:128 offset1:160
	;; [unrolled: 1-line block ×3, first 2 shown]
	s_waitcnt lgkmcnt(0)
	s_barrier
	global_load_dwordx4 v[100:103], v[4:5], off
	global_load_dwordx4 v[104:107], v[4:5], off offset:512
	v_pk_fma_f16 v30, v30, v7, v61 op_sel:[0,1,0]
	v_pk_fma_f16 v4, v31, v7, v108 op_sel_hi:[1,0,1]
	v_pk_fma_f16 v5, v31, v7, v109 op_sel:[0,1,0]
	v_pk_fma_f16 v31, v32, v7, v110 op_sel_hi:[1,0,1]
	;; [unrolled: 2-line block ×39, first 2 shown]
	v_pk_fma_f16 v88, v99, v3, v0 op_sel:[0,1,0]
	s_waitcnt vmcnt(1)
	ds_write_b128 v45, v[100:103]
	s_waitcnt vmcnt(0)
	ds_write_b128 v46, v[104:107]
	s_waitcnt lgkmcnt(0)
	s_barrier
	ds_read2_b64 v[30:33], v47 offset1:32
	ds_read_b128 v[56:59], v44 offset:256
	ds_read2_b64 v[68:71], v47 offset0:64 offset1:96
	ds_read_b128 v[72:75], v44 offset:272
	ds_read_b128 v[4:7], v44 offset:288
	;; [unrolled: 1-line block ×3, first 2 shown]
	s_waitcnt lgkmcnt(4)
	v_pk_fma_f16 v61, v30, v56, v61 op_sel_hi:[1,0,1]
	v_pk_fma_f16 v76, v30, v56, v76 op_sel:[0,1,0]
	v_pk_fma_f16 v77, v31, v56, v77 op_sel_hi:[1,0,1]
	v_pk_fma_f16 v78, v31, v56, v78 op_sel:[0,1,0]
	v_pk_fma_f16 v79, v32, v56, v79 op_sel_hi:[1,0,1]
	v_pk_fma_f16 v80, v32, v56, v80 op_sel:[0,1,0]
	v_pk_fma_f16 v81, v33, v56, v81 op_sel_hi:[1,0,1]
	v_pk_fma_f16 v82, v33, v56, v82 op_sel:[0,1,0]
	ds_read2_b64 v[30:33], v47 offset0:128 offset1:160
	s_waitcnt lgkmcnt(4)
	v_pk_fma_f16 v83, v68, v56, v83 op_sel_hi:[1,0,1]
	v_pk_fma_f16 v55, v68, v56, v55 op_sel:[0,1,0]
	v_pk_fma_f16 v84, v69, v56, v84 op_sel_hi:[1,0,1]
	v_pk_fma_f16 v85, v69, v56, v85 op_sel:[0,1,0]
	v_pk_fma_f16 v86, v70, v56, v86 op_sel_hi:[1,0,1]
	v_pk_fma_f16 v87, v70, v56, v87 op_sel:[0,1,0]
	v_pk_fma_f16 v60, v71, v56, v60 op_sel_hi:[1,0,1]
	v_pk_fma_f16 v56, v71, v56, v88 op_sel:[0,1,0]
	ds_read2_b64 v[68:71], v47 offset0:192 offset1:224
	s_waitcnt lgkmcnt(1)
	v_pk_fma_f16 v61, v30, v57, v61 op_sel_hi:[1,0,1]
	v_pk_fma_f16 v76, v30, v57, v76 op_sel:[0,1,0]
	v_pk_fma_f16 v77, v31, v57, v77 op_sel_hi:[1,0,1]
	v_pk_fma_f16 v78, v31, v57, v78 op_sel:[0,1,0]
	v_pk_fma_f16 v79, v32, v57, v79 op_sel_hi:[1,0,1]
	v_pk_fma_f16 v80, v32, v57, v80 op_sel:[0,1,0]
	v_pk_fma_f16 v81, v33, v57, v81 op_sel_hi:[1,0,1]
	v_pk_fma_f16 v82, v33, v57, v82 op_sel:[0,1,0]
	ds_read2_b64 v[30:33], v20 offset1:32
	s_waitcnt lgkmcnt(1)
	v_pk_fma_f16 v83, v68, v57, v83 op_sel_hi:[1,0,1]
	v_pk_fma_f16 v55, v68, v57, v55 op_sel:[0,1,0]
	v_pk_fma_f16 v84, v69, v57, v84 op_sel_hi:[1,0,1]
	v_pk_fma_f16 v85, v69, v57, v85 op_sel:[0,1,0]
	v_pk_fma_f16 v86, v70, v57, v86 op_sel_hi:[1,0,1]
	v_pk_fma_f16 v87, v70, v57, v87 op_sel:[0,1,0]
	v_pk_fma_f16 v60, v71, v57, v60 op_sel_hi:[1,0,1]
	v_pk_fma_f16 v56, v71, v57, v56 op_sel:[0,1,0]
	ds_read2_b64 v[68:71], v20 offset0:64 offset1:96
	s_waitcnt lgkmcnt(1)
	v_pk_fma_f16 v57, v30, v58, v61 op_sel_hi:[1,0,1]
	v_pk_fma_f16 v61, v30, v58, v76 op_sel:[0,1,0]
	v_pk_fma_f16 v76, v31, v58, v77 op_sel_hi:[1,0,1]
	v_pk_fma_f16 v77, v31, v58, v78 op_sel:[0,1,0]
	v_pk_fma_f16 v78, v32, v58, v79 op_sel_hi:[1,0,1]
	v_pk_fma_f16 v79, v32, v58, v80 op_sel:[0,1,0]
	v_pk_fma_f16 v80, v33, v58, v81 op_sel_hi:[1,0,1]
	v_pk_fma_f16 v81, v33, v58, v82 op_sel:[0,1,0]
	ds_read2_b64 v[30:33], v20 offset0:128 offset1:160
	s_waitcnt lgkmcnt(1)
	v_pk_fma_f16 v82, v68, v58, v83 op_sel_hi:[1,0,1]
	v_pk_fma_f16 v55, v68, v58, v55 op_sel:[0,1,0]
	v_pk_fma_f16 v83, v69, v58, v84 op_sel_hi:[1,0,1]
	v_pk_fma_f16 v84, v69, v58, v85 op_sel:[0,1,0]
	v_pk_fma_f16 v85, v70, v58, v86 op_sel_hi:[1,0,1]
	v_pk_fma_f16 v86, v70, v58, v87 op_sel:[0,1,0]
	v_pk_fma_f16 v60, v71, v58, v60 op_sel_hi:[1,0,1]
	v_pk_fma_f16 v56, v71, v58, v56 op_sel:[0,1,0]
	ds_read2_b64 v[68:71], v20 offset0:192 offset1:224
	s_waitcnt lgkmcnt(1)
	v_pk_fma_f16 v87, v30, v59, v57 op_sel_hi:[1,0,1]
	v_pk_fma_f16 v61, v30, v59, v61 op_sel:[0,1,0]
	v_pk_fma_f16 v76, v31, v59, v76 op_sel_hi:[1,0,1]
	v_pk_fma_f16 v77, v31, v59, v77 op_sel:[0,1,0]
	v_pk_fma_f16 v78, v32, v59, v78 op_sel_hi:[1,0,1]
	v_pk_fma_f16 v79, v32, v59, v79 op_sel:[0,1,0]
	v_pk_fma_f16 v80, v33, v59, v80 op_sel_hi:[1,0,1]
	v_pk_fma_f16 v81, v33, v59, v81 op_sel:[0,1,0]
	ds_read2_b64 v[30:33], v24 offset1:32
	s_waitcnt lgkmcnt(1)
	v_pk_fma_f16 v82, v68, v59, v82 op_sel_hi:[1,0,1]
	v_pk_fma_f16 v55, v68, v59, v55 op_sel:[0,1,0]
	v_pk_fma_f16 v68, v69, v59, v83 op_sel_hi:[1,0,1]
	v_pk_fma_f16 v69, v69, v59, v84 op_sel:[0,1,0]
	v_pk_fma_f16 v83, v70, v59, v85 op_sel_hi:[1,0,1]
	v_pk_fma_f16 v70, v70, v59, v86 op_sel:[0,1,0]
	v_pk_fma_f16 v60, v71, v59, v60 op_sel_hi:[1,0,1]
	v_pk_fma_f16 v71, v71, v59, v56 op_sel:[0,1,0]
	ds_read2_b64 v[56:59], v24 offset0:64 offset1:96
	;; [unrolled: 40-line block ×5, first 2 shown]
	s_waitcnt lgkmcnt(1)
	v_pk_fma_f16 v5, v30, v6, v71 op_sel_hi:[1,0,1]
	v_pk_fma_f16 v61, v30, v6, v61 op_sel:[0,1,0]
	v_pk_fma_f16 v108, v31, v6, v72 op_sel_hi:[1,0,1]
	v_pk_fma_f16 v109, v31, v6, v73 op_sel:[0,1,0]
	;; [unrolled: 2-line block ×4, first 2 shown]
	ds_read2_b64 v[30:33], v28 offset0:128 offset1:160
	s_or_b32 s10, s6, 0x50
	s_mul_hi_i32 s11, s10, s14
	s_mul_i32 s10, s10, s14
	s_lshl_b64 s[10:11], s[10:11], 2
	s_waitcnt lgkmcnt(1)
	v_pk_fma_f16 v114, v56, v6, v78 op_sel_hi:[1,0,1]
	v_pk_fma_f16 v55, v56, v6, v55 op_sel:[0,1,0]
	v_pk_fma_f16 v115, v57, v6, v68 op_sel_hi:[1,0,1]
	v_pk_fma_f16 v116, v57, v6, v69 op_sel:[0,1,0]
	;; [unrolled: 2-line block ×4, first 2 shown]
	s_waitcnt lgkmcnt(0)
	v_pk_fma_f16 v119, v30, v7, v5 op_sel_hi:[1,0,1]
	v_mov_b32_e32 v5, s11
	v_add_co_u32_e32 v4, vcc, s10, v48
	v_addc_co_u32_e32 v5, vcc, v49, v5, vcc
	ds_read2_b64 v[56:59], v28 offset0:192 offset1:224
	ds_read2_b64 v[68:71], v29 offset1:32
	ds_read2_b64 v[72:75], v29 offset0:64 offset1:96
	ds_read2_b64 v[76:79], v29 offset0:128 offset1:160
	;; [unrolled: 1-line block ×3, first 2 shown]
	ds_read2_b64 v[84:87], v22 offset1:32
	ds_read2_b64 v[88:91], v22 offset0:64 offset1:96
	ds_read2_b64 v[92:95], v22 offset0:128 offset1:160
	;; [unrolled: 1-line block ×3, first 2 shown]
	s_waitcnt lgkmcnt(0)
	s_barrier
	global_load_dwordx4 v[100:103], v[4:5], off
	global_load_dwordx4 v[104:107], v[4:5], off offset:512
	v_pk_fma_f16 v30, v30, v7, v61 op_sel:[0,1,0]
	v_pk_fma_f16 v4, v31, v7, v108 op_sel_hi:[1,0,1]
	v_pk_fma_f16 v5, v31, v7, v109 op_sel:[0,1,0]
	v_pk_fma_f16 v31, v32, v7, v110 op_sel_hi:[1,0,1]
	;; [unrolled: 2-line block ×39, first 2 shown]
	v_pk_fma_f16 v88, v99, v3, v0 op_sel:[0,1,0]
	s_waitcnt vmcnt(1)
	ds_write_b128 v45, v[100:103]
	s_waitcnt vmcnt(0)
	ds_write_b128 v46, v[104:107]
	s_waitcnt lgkmcnt(0)
	s_barrier
	ds_read2_b64 v[30:33], v47 offset1:32
	ds_read_b128 v[56:59], v44 offset:320
	ds_read2_b64 v[68:71], v47 offset0:64 offset1:96
	ds_read_b128 v[72:75], v44 offset:336
	ds_read_b128 v[4:7], v44 offset:352
	;; [unrolled: 1-line block ×3, first 2 shown]
	s_waitcnt lgkmcnt(4)
	v_pk_fma_f16 v61, v30, v56, v61 op_sel_hi:[1,0,1]
	v_pk_fma_f16 v76, v30, v56, v76 op_sel:[0,1,0]
	v_pk_fma_f16 v77, v31, v56, v77 op_sel_hi:[1,0,1]
	v_pk_fma_f16 v78, v31, v56, v78 op_sel:[0,1,0]
	v_pk_fma_f16 v79, v32, v56, v79 op_sel_hi:[1,0,1]
	v_pk_fma_f16 v80, v32, v56, v80 op_sel:[0,1,0]
	v_pk_fma_f16 v81, v33, v56, v81 op_sel_hi:[1,0,1]
	v_pk_fma_f16 v82, v33, v56, v82 op_sel:[0,1,0]
	ds_read2_b64 v[30:33], v47 offset0:128 offset1:160
	s_waitcnt lgkmcnt(4)
	v_pk_fma_f16 v83, v68, v56, v83 op_sel_hi:[1,0,1]
	v_pk_fma_f16 v55, v68, v56, v55 op_sel:[0,1,0]
	v_pk_fma_f16 v84, v69, v56, v84 op_sel_hi:[1,0,1]
	v_pk_fma_f16 v85, v69, v56, v85 op_sel:[0,1,0]
	v_pk_fma_f16 v86, v70, v56, v86 op_sel_hi:[1,0,1]
	v_pk_fma_f16 v87, v70, v56, v87 op_sel:[0,1,0]
	v_pk_fma_f16 v60, v71, v56, v60 op_sel_hi:[1,0,1]
	v_pk_fma_f16 v56, v71, v56, v88 op_sel:[0,1,0]
	ds_read2_b64 v[68:71], v47 offset0:192 offset1:224
	s_waitcnt lgkmcnt(1)
	v_pk_fma_f16 v61, v30, v57, v61 op_sel_hi:[1,0,1]
	v_pk_fma_f16 v76, v30, v57, v76 op_sel:[0,1,0]
	v_pk_fma_f16 v77, v31, v57, v77 op_sel_hi:[1,0,1]
	v_pk_fma_f16 v78, v31, v57, v78 op_sel:[0,1,0]
	v_pk_fma_f16 v79, v32, v57, v79 op_sel_hi:[1,0,1]
	v_pk_fma_f16 v80, v32, v57, v80 op_sel:[0,1,0]
	v_pk_fma_f16 v81, v33, v57, v81 op_sel_hi:[1,0,1]
	v_pk_fma_f16 v82, v33, v57, v82 op_sel:[0,1,0]
	ds_read2_b64 v[30:33], v20 offset1:32
	s_waitcnt lgkmcnt(1)
	v_pk_fma_f16 v83, v68, v57, v83 op_sel_hi:[1,0,1]
	v_pk_fma_f16 v55, v68, v57, v55 op_sel:[0,1,0]
	v_pk_fma_f16 v84, v69, v57, v84 op_sel_hi:[1,0,1]
	v_pk_fma_f16 v85, v69, v57, v85 op_sel:[0,1,0]
	v_pk_fma_f16 v86, v70, v57, v86 op_sel_hi:[1,0,1]
	v_pk_fma_f16 v87, v70, v57, v87 op_sel:[0,1,0]
	v_pk_fma_f16 v60, v71, v57, v60 op_sel_hi:[1,0,1]
	v_pk_fma_f16 v56, v71, v57, v56 op_sel:[0,1,0]
	ds_read2_b64 v[68:71], v20 offset0:64 offset1:96
	s_waitcnt lgkmcnt(1)
	v_pk_fma_f16 v57, v30, v58, v61 op_sel_hi:[1,0,1]
	v_pk_fma_f16 v61, v30, v58, v76 op_sel:[0,1,0]
	v_pk_fma_f16 v76, v31, v58, v77 op_sel_hi:[1,0,1]
	v_pk_fma_f16 v77, v31, v58, v78 op_sel:[0,1,0]
	v_pk_fma_f16 v78, v32, v58, v79 op_sel_hi:[1,0,1]
	v_pk_fma_f16 v79, v32, v58, v80 op_sel:[0,1,0]
	v_pk_fma_f16 v80, v33, v58, v81 op_sel_hi:[1,0,1]
	v_pk_fma_f16 v81, v33, v58, v82 op_sel:[0,1,0]
	ds_read2_b64 v[30:33], v20 offset0:128 offset1:160
	s_waitcnt lgkmcnt(1)
	v_pk_fma_f16 v82, v68, v58, v83 op_sel_hi:[1,0,1]
	v_pk_fma_f16 v55, v68, v58, v55 op_sel:[0,1,0]
	v_pk_fma_f16 v83, v69, v58, v84 op_sel_hi:[1,0,1]
	v_pk_fma_f16 v84, v69, v58, v85 op_sel:[0,1,0]
	v_pk_fma_f16 v85, v70, v58, v86 op_sel_hi:[1,0,1]
	v_pk_fma_f16 v86, v70, v58, v87 op_sel:[0,1,0]
	v_pk_fma_f16 v60, v71, v58, v60 op_sel_hi:[1,0,1]
	v_pk_fma_f16 v56, v71, v58, v56 op_sel:[0,1,0]
	ds_read2_b64 v[68:71], v20 offset0:192 offset1:224
	s_waitcnt lgkmcnt(1)
	v_pk_fma_f16 v87, v30, v59, v57 op_sel_hi:[1,0,1]
	v_pk_fma_f16 v61, v30, v59, v61 op_sel:[0,1,0]
	v_pk_fma_f16 v76, v31, v59, v76 op_sel_hi:[1,0,1]
	v_pk_fma_f16 v77, v31, v59, v77 op_sel:[0,1,0]
	v_pk_fma_f16 v78, v32, v59, v78 op_sel_hi:[1,0,1]
	v_pk_fma_f16 v79, v32, v59, v79 op_sel:[0,1,0]
	v_pk_fma_f16 v80, v33, v59, v80 op_sel_hi:[1,0,1]
	v_pk_fma_f16 v81, v33, v59, v81 op_sel:[0,1,0]
	ds_read2_b64 v[30:33], v24 offset1:32
	s_waitcnt lgkmcnt(1)
	v_pk_fma_f16 v82, v68, v59, v82 op_sel_hi:[1,0,1]
	v_pk_fma_f16 v55, v68, v59, v55 op_sel:[0,1,0]
	v_pk_fma_f16 v68, v69, v59, v83 op_sel_hi:[1,0,1]
	v_pk_fma_f16 v69, v69, v59, v84 op_sel:[0,1,0]
	v_pk_fma_f16 v83, v70, v59, v85 op_sel_hi:[1,0,1]
	v_pk_fma_f16 v70, v70, v59, v86 op_sel:[0,1,0]
	v_pk_fma_f16 v60, v71, v59, v60 op_sel_hi:[1,0,1]
	v_pk_fma_f16 v71, v71, v59, v56 op_sel:[0,1,0]
	ds_read2_b64 v[56:59], v24 offset0:64 offset1:96
	;; [unrolled: 40-line block ×5, first 2 shown]
	s_waitcnt lgkmcnt(1)
	v_pk_fma_f16 v5, v30, v6, v71 op_sel_hi:[1,0,1]
	v_pk_fma_f16 v61, v30, v6, v61 op_sel:[0,1,0]
	v_pk_fma_f16 v108, v31, v6, v72 op_sel_hi:[1,0,1]
	v_pk_fma_f16 v109, v31, v6, v73 op_sel:[0,1,0]
	;; [unrolled: 2-line block ×4, first 2 shown]
	ds_read2_b64 v[30:33], v28 offset0:128 offset1:160
	s_or_b32 s10, s6, 0x60
	s_mul_hi_i32 s11, s10, s14
	s_mul_i32 s10, s10, s14
	s_lshl_b64 s[10:11], s[10:11], 2
	s_waitcnt lgkmcnt(1)
	v_pk_fma_f16 v114, v56, v6, v78 op_sel_hi:[1,0,1]
	v_pk_fma_f16 v55, v56, v6, v55 op_sel:[0,1,0]
	v_pk_fma_f16 v115, v57, v6, v68 op_sel_hi:[1,0,1]
	v_pk_fma_f16 v116, v57, v6, v69 op_sel:[0,1,0]
	;; [unrolled: 2-line block ×4, first 2 shown]
	s_waitcnt lgkmcnt(0)
	v_pk_fma_f16 v119, v30, v7, v5 op_sel_hi:[1,0,1]
	v_mov_b32_e32 v5, s11
	v_add_co_u32_e32 v4, vcc, s10, v48
	v_addc_co_u32_e32 v5, vcc, v49, v5, vcc
	ds_read2_b64 v[56:59], v28 offset0:192 offset1:224
	ds_read2_b64 v[68:71], v29 offset1:32
	ds_read2_b64 v[72:75], v29 offset0:64 offset1:96
	ds_read2_b64 v[76:79], v29 offset0:128 offset1:160
	;; [unrolled: 1-line block ×3, first 2 shown]
	ds_read2_b64 v[84:87], v22 offset1:32
	ds_read2_b64 v[88:91], v22 offset0:64 offset1:96
	ds_read2_b64 v[92:95], v22 offset0:128 offset1:160
	;; [unrolled: 1-line block ×3, first 2 shown]
	s_waitcnt lgkmcnt(0)
	s_barrier
	global_load_dwordx4 v[100:103], v[4:5], off
	global_load_dwordx4 v[104:107], v[4:5], off offset:512
	v_pk_fma_f16 v30, v30, v7, v61 op_sel:[0,1,0]
	v_pk_fma_f16 v4, v31, v7, v108 op_sel_hi:[1,0,1]
	v_pk_fma_f16 v5, v31, v7, v109 op_sel:[0,1,0]
	v_pk_fma_f16 v31, v32, v7, v110 op_sel_hi:[1,0,1]
	;; [unrolled: 2-line block ×39, first 2 shown]
	v_pk_fma_f16 v88, v99, v3, v0 op_sel:[0,1,0]
	s_waitcnt vmcnt(1)
	ds_write_b128 v45, v[100:103]
	s_waitcnt vmcnt(0)
	ds_write_b128 v46, v[104:107]
	s_waitcnt lgkmcnt(0)
	s_barrier
	ds_read2_b64 v[30:33], v47 offset1:32
	ds_read_b128 v[56:59], v44 offset:384
	ds_read2_b64 v[68:71], v47 offset0:64 offset1:96
	ds_read_b128 v[72:75], v44 offset:400
	ds_read_b128 v[4:7], v44 offset:416
	;; [unrolled: 1-line block ×3, first 2 shown]
	s_waitcnt lgkmcnt(4)
	v_pk_fma_f16 v61, v30, v56, v61 op_sel_hi:[1,0,1]
	v_pk_fma_f16 v76, v30, v56, v76 op_sel:[0,1,0]
	v_pk_fma_f16 v77, v31, v56, v77 op_sel_hi:[1,0,1]
	v_pk_fma_f16 v78, v31, v56, v78 op_sel:[0,1,0]
	v_pk_fma_f16 v79, v32, v56, v79 op_sel_hi:[1,0,1]
	v_pk_fma_f16 v80, v32, v56, v80 op_sel:[0,1,0]
	v_pk_fma_f16 v81, v33, v56, v81 op_sel_hi:[1,0,1]
	v_pk_fma_f16 v82, v33, v56, v82 op_sel:[0,1,0]
	ds_read2_b64 v[30:33], v47 offset0:128 offset1:160
	s_waitcnt lgkmcnt(4)
	v_pk_fma_f16 v83, v68, v56, v83 op_sel_hi:[1,0,1]
	v_pk_fma_f16 v55, v68, v56, v55 op_sel:[0,1,0]
	v_pk_fma_f16 v84, v69, v56, v84 op_sel_hi:[1,0,1]
	v_pk_fma_f16 v85, v69, v56, v85 op_sel:[0,1,0]
	v_pk_fma_f16 v86, v70, v56, v86 op_sel_hi:[1,0,1]
	v_pk_fma_f16 v87, v70, v56, v87 op_sel:[0,1,0]
	v_pk_fma_f16 v60, v71, v56, v60 op_sel_hi:[1,0,1]
	v_pk_fma_f16 v56, v71, v56, v88 op_sel:[0,1,0]
	ds_read2_b64 v[68:71], v47 offset0:192 offset1:224
	s_waitcnt lgkmcnt(1)
	v_pk_fma_f16 v61, v30, v57, v61 op_sel_hi:[1,0,1]
	v_pk_fma_f16 v76, v30, v57, v76 op_sel:[0,1,0]
	v_pk_fma_f16 v77, v31, v57, v77 op_sel_hi:[1,0,1]
	v_pk_fma_f16 v78, v31, v57, v78 op_sel:[0,1,0]
	v_pk_fma_f16 v79, v32, v57, v79 op_sel_hi:[1,0,1]
	v_pk_fma_f16 v80, v32, v57, v80 op_sel:[0,1,0]
	v_pk_fma_f16 v81, v33, v57, v81 op_sel_hi:[1,0,1]
	v_pk_fma_f16 v82, v33, v57, v82 op_sel:[0,1,0]
	ds_read2_b64 v[30:33], v20 offset1:32
	s_waitcnt lgkmcnt(1)
	v_pk_fma_f16 v83, v68, v57, v83 op_sel_hi:[1,0,1]
	v_pk_fma_f16 v55, v68, v57, v55 op_sel:[0,1,0]
	v_pk_fma_f16 v84, v69, v57, v84 op_sel_hi:[1,0,1]
	v_pk_fma_f16 v85, v69, v57, v85 op_sel:[0,1,0]
	v_pk_fma_f16 v86, v70, v57, v86 op_sel_hi:[1,0,1]
	v_pk_fma_f16 v87, v70, v57, v87 op_sel:[0,1,0]
	v_pk_fma_f16 v60, v71, v57, v60 op_sel_hi:[1,0,1]
	v_pk_fma_f16 v56, v71, v57, v56 op_sel:[0,1,0]
	ds_read2_b64 v[68:71], v20 offset0:64 offset1:96
	s_waitcnt lgkmcnt(1)
	v_pk_fma_f16 v57, v30, v58, v61 op_sel_hi:[1,0,1]
	v_pk_fma_f16 v61, v30, v58, v76 op_sel:[0,1,0]
	v_pk_fma_f16 v76, v31, v58, v77 op_sel_hi:[1,0,1]
	v_pk_fma_f16 v77, v31, v58, v78 op_sel:[0,1,0]
	v_pk_fma_f16 v78, v32, v58, v79 op_sel_hi:[1,0,1]
	v_pk_fma_f16 v79, v32, v58, v80 op_sel:[0,1,0]
	v_pk_fma_f16 v80, v33, v58, v81 op_sel_hi:[1,0,1]
	v_pk_fma_f16 v81, v33, v58, v82 op_sel:[0,1,0]
	ds_read2_b64 v[30:33], v20 offset0:128 offset1:160
	s_waitcnt lgkmcnt(1)
	v_pk_fma_f16 v82, v68, v58, v83 op_sel_hi:[1,0,1]
	v_pk_fma_f16 v55, v68, v58, v55 op_sel:[0,1,0]
	v_pk_fma_f16 v83, v69, v58, v84 op_sel_hi:[1,0,1]
	v_pk_fma_f16 v84, v69, v58, v85 op_sel:[0,1,0]
	v_pk_fma_f16 v85, v70, v58, v86 op_sel_hi:[1,0,1]
	v_pk_fma_f16 v86, v70, v58, v87 op_sel:[0,1,0]
	v_pk_fma_f16 v60, v71, v58, v60 op_sel_hi:[1,0,1]
	v_pk_fma_f16 v56, v71, v58, v56 op_sel:[0,1,0]
	ds_read2_b64 v[68:71], v20 offset0:192 offset1:224
	s_waitcnt lgkmcnt(1)
	v_pk_fma_f16 v87, v30, v59, v57 op_sel_hi:[1,0,1]
	v_pk_fma_f16 v61, v30, v59, v61 op_sel:[0,1,0]
	v_pk_fma_f16 v76, v31, v59, v76 op_sel_hi:[1,0,1]
	v_pk_fma_f16 v77, v31, v59, v77 op_sel:[0,1,0]
	v_pk_fma_f16 v78, v32, v59, v78 op_sel_hi:[1,0,1]
	v_pk_fma_f16 v79, v32, v59, v79 op_sel:[0,1,0]
	v_pk_fma_f16 v80, v33, v59, v80 op_sel_hi:[1,0,1]
	v_pk_fma_f16 v81, v33, v59, v81 op_sel:[0,1,0]
	ds_read2_b64 v[30:33], v24 offset1:32
	s_waitcnt lgkmcnt(1)
	v_pk_fma_f16 v82, v68, v59, v82 op_sel_hi:[1,0,1]
	v_pk_fma_f16 v55, v68, v59, v55 op_sel:[0,1,0]
	v_pk_fma_f16 v68, v69, v59, v83 op_sel_hi:[1,0,1]
	v_pk_fma_f16 v69, v69, v59, v84 op_sel:[0,1,0]
	v_pk_fma_f16 v83, v70, v59, v85 op_sel_hi:[1,0,1]
	v_pk_fma_f16 v70, v70, v59, v86 op_sel:[0,1,0]
	v_pk_fma_f16 v60, v71, v59, v60 op_sel_hi:[1,0,1]
	v_pk_fma_f16 v71, v71, v59, v56 op_sel:[0,1,0]
	ds_read2_b64 v[56:59], v24 offset0:64 offset1:96
	;; [unrolled: 40-line block ×5, first 2 shown]
	s_waitcnt lgkmcnt(1)
	v_pk_fma_f16 v5, v30, v6, v71 op_sel_hi:[1,0,1]
	v_pk_fma_f16 v61, v30, v6, v61 op_sel:[0,1,0]
	v_pk_fma_f16 v108, v31, v6, v72 op_sel_hi:[1,0,1]
	v_pk_fma_f16 v109, v31, v6, v73 op_sel:[0,1,0]
	;; [unrolled: 2-line block ×4, first 2 shown]
	ds_read2_b64 v[30:33], v28 offset0:128 offset1:160
	s_or_b32 s10, s6, 0x70
	s_mul_hi_i32 s11, s10, s14
	s_mul_i32 s10, s10, s14
	s_lshl_b64 s[10:11], s[10:11], 2
	s_waitcnt lgkmcnt(1)
	v_pk_fma_f16 v114, v56, v6, v78 op_sel_hi:[1,0,1]
	v_pk_fma_f16 v55, v56, v6, v55 op_sel:[0,1,0]
	v_pk_fma_f16 v115, v57, v6, v68 op_sel_hi:[1,0,1]
	v_pk_fma_f16 v116, v57, v6, v69 op_sel:[0,1,0]
	;; [unrolled: 2-line block ×4, first 2 shown]
	s_waitcnt lgkmcnt(0)
	v_pk_fma_f16 v119, v30, v7, v5 op_sel_hi:[1,0,1]
	v_mov_b32_e32 v5, s11
	v_add_co_u32_e32 v4, vcc, s10, v48
	v_addc_co_u32_e32 v5, vcc, v49, v5, vcc
	ds_read2_b64 v[56:59], v28 offset0:192 offset1:224
	ds_read2_b64 v[68:71], v29 offset1:32
	ds_read2_b64 v[72:75], v29 offset0:64 offset1:96
	ds_read2_b64 v[76:79], v29 offset0:128 offset1:160
	;; [unrolled: 1-line block ×3, first 2 shown]
	ds_read2_b64 v[84:87], v22 offset1:32
	ds_read2_b64 v[88:91], v22 offset0:64 offset1:96
	ds_read2_b64 v[92:95], v22 offset0:128 offset1:160
	ds_read2_b64 v[96:99], v22 offset0:192 offset1:224
	s_waitcnt lgkmcnt(0)
	s_barrier
	global_load_dwordx4 v[100:103], v[4:5], off
	global_load_dwordx4 v[104:107], v[4:5], off offset:512
	v_pk_fma_f16 v30, v30, v7, v61 op_sel:[0,1,0]
	v_pk_fma_f16 v4, v31, v7, v108 op_sel_hi:[1,0,1]
	v_pk_fma_f16 v5, v31, v7, v109 op_sel:[0,1,0]
	v_pk_fma_f16 v31, v32, v7, v110 op_sel_hi:[1,0,1]
	;; [unrolled: 2-line block ×39, first 2 shown]
	v_pk_fma_f16 v88, v99, v3, v0 op_sel:[0,1,0]
	s_waitcnt vmcnt(1)
	ds_write_b128 v45, v[100:103]
	s_waitcnt vmcnt(0)
	ds_write_b128 v46, v[104:107]
	s_waitcnt lgkmcnt(0)
	s_barrier
	ds_read2_b64 v[30:33], v47 offset1:32
	ds_read_b128 v[56:59], v44 offset:448
	ds_read2_b64 v[68:71], v47 offset0:64 offset1:96
	ds_read_b128 v[72:75], v44 offset:464
	ds_read_b128 v[4:7], v44 offset:480
	;; [unrolled: 1-line block ×3, first 2 shown]
	s_waitcnt lgkmcnt(4)
	v_pk_fma_f16 v61, v30, v56, v61 op_sel_hi:[1,0,1]
	v_pk_fma_f16 v76, v30, v56, v76 op_sel:[0,1,0]
	v_pk_fma_f16 v77, v31, v56, v77 op_sel_hi:[1,0,1]
	v_pk_fma_f16 v78, v31, v56, v78 op_sel:[0,1,0]
	v_pk_fma_f16 v79, v32, v56, v79 op_sel_hi:[1,0,1]
	v_pk_fma_f16 v80, v32, v56, v80 op_sel:[0,1,0]
	v_pk_fma_f16 v81, v33, v56, v81 op_sel_hi:[1,0,1]
	v_pk_fma_f16 v82, v33, v56, v82 op_sel:[0,1,0]
	ds_read2_b64 v[30:33], v47 offset0:128 offset1:160
	s_waitcnt lgkmcnt(4)
	v_pk_fma_f16 v83, v68, v56, v83 op_sel_hi:[1,0,1]
	v_pk_fma_f16 v55, v68, v56, v55 op_sel:[0,1,0]
	v_pk_fma_f16 v84, v69, v56, v84 op_sel_hi:[1,0,1]
	v_pk_fma_f16 v85, v69, v56, v85 op_sel:[0,1,0]
	v_pk_fma_f16 v86, v70, v56, v86 op_sel_hi:[1,0,1]
	v_pk_fma_f16 v87, v70, v56, v87 op_sel:[0,1,0]
	v_pk_fma_f16 v60, v71, v56, v60 op_sel_hi:[1,0,1]
	v_pk_fma_f16 v56, v71, v56, v88 op_sel:[0,1,0]
	ds_read2_b64 v[68:71], v47 offset0:192 offset1:224
	s_waitcnt lgkmcnt(1)
	v_pk_fma_f16 v61, v30, v57, v61 op_sel_hi:[1,0,1]
	v_pk_fma_f16 v76, v30, v57, v76 op_sel:[0,1,0]
	v_pk_fma_f16 v77, v31, v57, v77 op_sel_hi:[1,0,1]
	v_pk_fma_f16 v78, v31, v57, v78 op_sel:[0,1,0]
	v_pk_fma_f16 v79, v32, v57, v79 op_sel_hi:[1,0,1]
	v_pk_fma_f16 v80, v32, v57, v80 op_sel:[0,1,0]
	v_pk_fma_f16 v81, v33, v57, v81 op_sel_hi:[1,0,1]
	v_pk_fma_f16 v82, v33, v57, v82 op_sel:[0,1,0]
	ds_read2_b64 v[30:33], v20 offset1:32
	s_waitcnt lgkmcnt(1)
	v_pk_fma_f16 v83, v68, v57, v83 op_sel_hi:[1,0,1]
	v_pk_fma_f16 v55, v68, v57, v55 op_sel:[0,1,0]
	v_pk_fma_f16 v84, v69, v57, v84 op_sel_hi:[1,0,1]
	v_pk_fma_f16 v85, v69, v57, v85 op_sel:[0,1,0]
	v_pk_fma_f16 v86, v70, v57, v86 op_sel_hi:[1,0,1]
	v_pk_fma_f16 v87, v70, v57, v87 op_sel:[0,1,0]
	v_pk_fma_f16 v60, v71, v57, v60 op_sel_hi:[1,0,1]
	v_pk_fma_f16 v56, v71, v57, v56 op_sel:[0,1,0]
	ds_read2_b64 v[68:71], v20 offset0:64 offset1:96
	s_waitcnt lgkmcnt(1)
	v_pk_fma_f16 v57, v30, v58, v61 op_sel_hi:[1,0,1]
	v_pk_fma_f16 v61, v30, v58, v76 op_sel:[0,1,0]
	v_pk_fma_f16 v76, v31, v58, v77 op_sel_hi:[1,0,1]
	v_pk_fma_f16 v77, v31, v58, v78 op_sel:[0,1,0]
	v_pk_fma_f16 v78, v32, v58, v79 op_sel_hi:[1,0,1]
	v_pk_fma_f16 v79, v32, v58, v80 op_sel:[0,1,0]
	v_pk_fma_f16 v80, v33, v58, v81 op_sel_hi:[1,0,1]
	v_pk_fma_f16 v81, v33, v58, v82 op_sel:[0,1,0]
	ds_read2_b64 v[30:33], v20 offset0:128 offset1:160
	s_waitcnt lgkmcnt(1)
	v_pk_fma_f16 v82, v68, v58, v83 op_sel_hi:[1,0,1]
	v_pk_fma_f16 v55, v68, v58, v55 op_sel:[0,1,0]
	v_pk_fma_f16 v83, v69, v58, v84 op_sel_hi:[1,0,1]
	v_pk_fma_f16 v84, v69, v58, v85 op_sel:[0,1,0]
	v_pk_fma_f16 v85, v70, v58, v86 op_sel_hi:[1,0,1]
	v_pk_fma_f16 v86, v70, v58, v87 op_sel:[0,1,0]
	v_pk_fma_f16 v60, v71, v58, v60 op_sel_hi:[1,0,1]
	v_pk_fma_f16 v56, v71, v58, v56 op_sel:[0,1,0]
	ds_read2_b64 v[68:71], v20 offset0:192 offset1:224
	s_waitcnt lgkmcnt(1)
	v_pk_fma_f16 v20, v30, v59, v57 op_sel_hi:[1,0,1]
	v_pk_fma_f16 v61, v30, v59, v61 op_sel:[0,1,0]
	v_pk_fma_f16 v76, v31, v59, v76 op_sel_hi:[1,0,1]
	v_pk_fma_f16 v77, v31, v59, v77 op_sel:[0,1,0]
	v_pk_fma_f16 v78, v32, v59, v78 op_sel_hi:[1,0,1]
	v_pk_fma_f16 v79, v32, v59, v79 op_sel:[0,1,0]
	v_pk_fma_f16 v80, v33, v59, v80 op_sel_hi:[1,0,1]
	v_pk_fma_f16 v81, v33, v59, v81 op_sel:[0,1,0]
	ds_read2_b64 v[30:33], v24 offset1:32
	s_waitcnt lgkmcnt(1)
	v_pk_fma_f16 v82, v68, v59, v82 op_sel_hi:[1,0,1]
	v_pk_fma_f16 v55, v68, v59, v55 op_sel:[0,1,0]
	v_pk_fma_f16 v68, v69, v59, v83 op_sel_hi:[1,0,1]
	v_pk_fma_f16 v69, v69, v59, v84 op_sel:[0,1,0]
	v_pk_fma_f16 v83, v70, v59, v85 op_sel_hi:[1,0,1]
	v_pk_fma_f16 v70, v70, v59, v86 op_sel:[0,1,0]
	v_pk_fma_f16 v60, v71, v59, v60 op_sel_hi:[1,0,1]
	v_pk_fma_f16 v71, v71, v59, v56 op_sel:[0,1,0]
	ds_read2_b64 v[56:59], v24 offset0:64 offset1:96
	;; [unrolled: 40-line block ×6, first 2 shown]
	s_waitcnt lgkmcnt(1)
	v_pk_fma_f16 v28, v30, v0, v28 op_sel_hi:[1,0,1]
	v_pk_fma_f16 v20, v30, v0, v20 op_sel:[0,1,0]
	v_pk_fma_f16 v24, v31, v0, v24 op_sel_hi:[1,0,1]
	v_pk_fma_f16 v26, v31, v0, v26 op_sel:[0,1,0]
	v_pk_fma_f16 v27, v32, v0, v27 op_sel_hi:[1,0,1]
	v_pk_fma_f16 v61, v32, v0, v61 op_sel:[0,1,0]
	v_pk_fma_f16 v69, v33, v0, v71 op_sel_hi:[1,0,1]
	v_pk_fma_f16 v70, v33, v0, v72 op_sel:[0,1,0]
	ds_read2_b64 v[30:33], v29 offset0:128 offset1:160
	s_waitcnt lgkmcnt(1)
	v_pk_fma_f16 v71, v4, v0, v73 op_sel_hi:[1,0,1]
	v_pk_fma_f16 v55, v4, v0, v55 op_sel:[0,1,0]
	v_pk_fma_f16 v56, v5, v0, v56 op_sel_hi:[1,0,1]
	v_pk_fma_f16 v57, v5, v0, v57 op_sel:[0,1,0]
	;; [unrolled: 2-line block ×4, first 2 shown]
	ds_read2_b64 v[4:7], v29 offset0:192 offset1:224
	s_waitcnt lgkmcnt(1)
	v_pk_fma_f16 v59, v30, v1, v28 op_sel_hi:[1,0,1]
	v_pk_fma_f16 v20, v30, v1, v20 op_sel:[0,1,0]
	v_pk_fma_f16 v24, v31, v1, v24 op_sel_hi:[1,0,1]
	v_pk_fma_f16 v30, v31, v1, v26 op_sel:[0,1,0]
	v_pk_fma_f16 v31, v32, v1, v27 op_sel_hi:[1,0,1]
	ds_read2_b64 v[26:29], v22 offset1:32
	v_pk_fma_f16 v32, v32, v1, v61 op_sel:[0,1,0]
	v_pk_fma_f16 v61, v33, v1, v69 op_sel_hi:[1,0,1]
	v_pk_fma_f16 v33, v33, v1, v70 op_sel:[0,1,0]
	s_waitcnt lgkmcnt(1)
	v_pk_fma_f16 v69, v4, v1, v71 op_sel_hi:[1,0,1]
	v_pk_fma_f16 v55, v4, v1, v55 op_sel:[0,1,0]
	v_pk_fma_f16 v56, v5, v1, v56 op_sel_hi:[1,0,1]
	v_pk_fma_f16 v57, v5, v1, v57 op_sel:[0,1,0]
	v_pk_fma_f16 v68, v6, v1, v68 op_sel_hi:[1,0,1]
	v_pk_fma_f16 v58, v6, v1, v58 op_sel:[0,1,0]
	v_pk_fma_f16 v60, v7, v1, v60 op_sel_hi:[1,0,1]
	v_pk_fma_f16 v0, v7, v1, v0 op_sel:[0,1,0]
	ds_read2_b64 v[4:7], v22 offset0:64 offset1:96
	s_waitcnt lgkmcnt(1)
	v_pk_fma_f16 v1, v26, v2, v59 op_sel_hi:[1,0,1]
	v_pk_fma_f16 v20, v26, v2, v20 op_sel:[0,1,0]
	v_pk_fma_f16 v24, v27, v2, v24 op_sel_hi:[1,0,1]
	v_pk_fma_f16 v70, v27, v2, v30 op_sel:[0,1,0]
	;; [unrolled: 2-line block ×4, first 2 shown]
	ds_read2_b64 v[26:29], v22 offset0:128 offset1:160
	ds_read2_b64 v[30:33], v22 offset0:192 offset1:224
	s_waitcnt lgkmcnt(0)
	s_barrier
	s_load_dword s10, s[8:9], 0x4
	v_pk_fma_f16 v69, v4, v2, v69 op_sel_hi:[1,0,1]
	v_pk_fma_f16 v74, v4, v2, v55 op_sel:[0,1,0]
	v_pk_fma_f16 v75, v5, v2, v56 op_sel_hi:[1,0,1]
	v_pk_fma_f16 v5, v5, v2, v57 op_sel:[0,1,0]
	s_waitcnt lgkmcnt(0)
	s_lshl_b32 s10, s10, 7
	v_pk_fma_f16 v57, v6, v2, v68 op_sel_hi:[1,0,1]
	v_pk_fma_f16 v6, v6, v2, v58 op_sel:[0,1,0]
	v_pk_fma_f16 v68, v7, v2, v60 op_sel_hi:[1,0,1]
	v_pk_fma_f16 v76, v7, v2, v0 op_sel:[0,1,0]
	s_add_i32 s6, s10, s6
	v_pk_fma_f16 v59, v26, v3, v1 op_sel_hi:[1,0,1]
	v_pk_fma_f16 v55, v26, v3, v20 op_sel:[0,1,0]
	v_pk_fma_f16 v22, v27, v3, v24 op_sel_hi:[1,0,1]
	v_pk_fma_f16 v4, v27, v3, v70 op_sel:[0,1,0]
	;; [unrolled: 2-line block ×7, first 2 shown]
	v_pk_fma_f16 v6, v33, v3, v68 op_sel_hi:[1,0,1]
	s_cmp_ge_i32 s6, s28
	v_pk_fma_f16 v1, v33, v3, v76 op_sel:[0,1,0]
	s_cbranch_scc1 .LBB26_42
.LBB26_10:                              ; =>This Inner Loop Header: Depth=1
	s_mul_hi_i32 s11, s6, s15
	s_mul_i32 s10, s6, s15
	s_lshl_b64 s[10:11], s[10:11], 2
	s_add_u32 s10, s18, s10
	s_addc_u32 s11, s19, s11
	v_mov_b32_e32 v3, s11
	v_add_co_u32_e32 v26, vcc, s10, v16
	v_addc_co_u32_e32 v3, vcc, v3, v17, vcc
	v_add_co_u32_e32 v26, vcc, v26, v50
	v_addc_co_u32_e32 v27, vcc, 0, v3, vcc
	v_mov_b32_e32 v3, s11
	v_add_co_u32_e32 v28, vcc, s10, v18
	v_addc_co_u32_e32 v3, vcc, v3, v19, vcc
	v_add_co_u32_e32 v28, vcc, v28, v50
	v_addc_co_u32_e32 v29, vcc, 0, v3, vcc
	global_load_dwordx4 v[64:67], v[26:27], off
	global_load_dwordx4 v[68:71], v[28:29], off
	v_mov_b32_e32 v30, 0
	v_mov_b32_e32 v3, 0
	v_mov_b32_e32 v31, 0
	v_mov_b32_e32 v32, 0
	v_mov_b32_e32 v62, 0
	v_mov_b32_e32 v33, 0
	v_mov_b32_e32 v63, 0
	v_mov_b32_e32 v61, 0
	s_waitcnt vmcnt(1)
	ds_write_b128 v25, v[64:67]
	s_waitcnt vmcnt(0)
	ds_write_b128 v34, v[68:71]
	s_waitcnt lgkmcnt(0)
	s_barrier
	ds_read_b128 v[64:67], v36
	ds_read_b128 v[68:71], v35
	ds_read_b128 v[72:75], v35 offset:4608
	ds_read_b128 v[76:79], v35 offset:9216
	;; [unrolled: 1-line block ×4, first 2 shown]
	s_waitcnt lgkmcnt(4)
	;;#ASMSTART
	v_dot2_f32_f16 v30, v68, v64, v30
	;;#ASMEND
	;;#ASMSTART
	v_dot2_f32_f16 v30, v69, v65, v30
	;;#ASMEND
	;; [unrolled: 3-line block ×4, first 2 shown]
	s_waitcnt lgkmcnt(0)
	;;#ASMSTART
	v_dot2_f32_f16 v3, v68, v84, v3
	;;#ASMEND
	;;#ASMSTART
	v_dot2_f32_f16 v3, v69, v85, v3
	;;#ASMEND
	;;#ASMSTART
	v_dot2_f32_f16 v3, v70, v86, v3
	;;#ASMEND
	;;#ASMSTART
	v_dot2_f32_f16 v3, v71, v87, v3
	;;#ASMEND
	;;#ASMSTART
	v_dot2_f32_f16 v31, v72, v64, v31
	;;#ASMEND
	;;#ASMSTART
	v_dot2_f32_f16 v31, v73, v65, v31
	;;#ASMEND
	;;#ASMSTART
	v_dot2_f32_f16 v31, v74, v66, v31
	;;#ASMEND
	;;#ASMSTART
	v_dot2_f32_f16 v31, v75, v67, v31
	;;#ASMEND
	;;#ASMSTART
	v_dot2_f32_f16 v32, v72, v84, v32
	;;#ASMEND
	;;#ASMSTART
	v_dot2_f32_f16 v32, v73, v85, v32
	;;#ASMEND
	;;#ASMSTART
	v_dot2_f32_f16 v32, v74, v86, v32
	;;#ASMEND
	;;#ASMSTART
	v_dot2_f32_f16 v32, v75, v87, v32
	;;#ASMEND
	;;#ASMSTART
	v_dot2_f32_f16 v62, v76, v64, v62
	;;#ASMEND
	;;#ASMSTART
	v_dot2_f32_f16 v62, v77, v65, v62
	;;#ASMEND
	;;#ASMSTART
	v_dot2_f32_f16 v62, v78, v66, v62
	;;#ASMEND
	;;#ASMSTART
	v_dot2_f32_f16 v62, v79, v67, v62
	;;#ASMEND
	;;#ASMSTART
	v_dot2_f32_f16 v33, v76, v84, v33
	;;#ASMEND
	;;#ASMSTART
	v_dot2_f32_f16 v33, v77, v85, v33
	;;#ASMEND
	;;#ASMSTART
	v_dot2_f32_f16 v33, v78, v86, v33
	;;#ASMEND
	;;#ASMSTART
	v_dot2_f32_f16 v33, v79, v87, v33
	;;#ASMEND
	;;#ASMSTART
	v_dot2_f32_f16 v63, v80, v64, v63
	;;#ASMEND
	;;#ASMSTART
	v_dot2_f32_f16 v63, v81, v65, v63
	;;#ASMEND
	;;#ASMSTART
	v_dot2_f32_f16 v63, v82, v66, v63
	;;#ASMEND
	;;#ASMSTART
	v_dot2_f32_f16 v63, v83, v67, v63
	;;#ASMEND
	;;#ASMSTART
	v_dot2_f32_f16 v61, v80, v84, v61
	;;#ASMEND
	;;#ASMSTART
	v_dot2_f32_f16 v61, v81, v85, v61
	;;#ASMEND
	;;#ASMSTART
	v_dot2_f32_f16 v61, v82, v86, v61
	;;#ASMEND
	;;#ASMSTART
	v_dot2_f32_f16 v61, v83, v87, v61
	;;#ASMEND
	ds_read_b128 v[64:67], v36 offset:16
	ds_read_b128 v[68:71], v35 offset:16
	;; [unrolled: 1-line block ×6, first 2 shown]
	s_waitcnt lgkmcnt(4)
	;;#ASMSTART
	v_dot2_f32_f16 v30, v68, v64, v30
	;;#ASMEND
	;;#ASMSTART
	v_dot2_f32_f16 v30, v69, v65, v30
	;;#ASMEND
	;; [unrolled: 3-line block ×4, first 2 shown]
	s_waitcnt lgkmcnt(0)
	;;#ASMSTART
	v_dot2_f32_f16 v3, v68, v84, v3
	;;#ASMEND
	;;#ASMSTART
	v_dot2_f32_f16 v3, v69, v85, v3
	;;#ASMEND
	;; [unrolled: 3-line block ×28, first 2 shown]
	ds_read_b128 v[64:67], v36 offset:32
	ds_read_b128 v[68:71], v35 offset:32
	;; [unrolled: 1-line block ×6, first 2 shown]
	s_waitcnt lgkmcnt(4)
	;;#ASMSTART
	v_dot2_f32_f16 v30, v68, v64, v30
	;;#ASMEND
	;;#ASMSTART
	v_dot2_f32_f16 v30, v69, v65, v30
	;;#ASMEND
	;; [unrolled: 3-line block ×4, first 2 shown]
	s_waitcnt lgkmcnt(0)
	;;#ASMSTART
	v_dot2_f32_f16 v3, v68, v84, v3
	;;#ASMEND
	;;#ASMSTART
	v_dot2_f32_f16 v3, v69, v85, v3
	;;#ASMEND
	;; [unrolled: 3-line block ×28, first 2 shown]
	ds_read_b128 v[64:67], v36 offset:48
	ds_read_b128 v[68:71], v35 offset:48
	;; [unrolled: 1-line block ×6, first 2 shown]
	s_waitcnt lgkmcnt(4)
	;;#ASMSTART
	v_dot2_f32_f16 v30, v68, v64, v30
	;;#ASMEND
	;;#ASMSTART
	v_dot2_f32_f16 v30, v69, v65, v30
	;;#ASMEND
	;; [unrolled: 3-line block ×4, first 2 shown]
	s_waitcnt lgkmcnt(0)
	;;#ASMSTART
	v_dot2_f32_f16 v3, v68, v84, v3
	;;#ASMEND
	;;#ASMSTART
	v_dot2_f32_f16 v3, v69, v85, v3
	;;#ASMEND
	;; [unrolled: 3-line block ×28, first 2 shown]
	ds_read_b128 v[64:67], v36 offset:64
	ds_read_b128 v[68:71], v35 offset:64
	;; [unrolled: 1-line block ×6, first 2 shown]
	s_waitcnt lgkmcnt(4)
	;;#ASMSTART
	v_dot2_f32_f16 v30, v68, v64, v30
	;;#ASMEND
	;;#ASMSTART
	v_dot2_f32_f16 v30, v69, v65, v30
	;;#ASMEND
	;; [unrolled: 3-line block ×4, first 2 shown]
	s_waitcnt lgkmcnt(0)
	;;#ASMSTART
	v_dot2_f32_f16 v3, v68, v84, v3
	;;#ASMEND
	;;#ASMSTART
	v_dot2_f32_f16 v3, v69, v85, v3
	;;#ASMEND
	;; [unrolled: 3-line block ×28, first 2 shown]
	ds_read_b128 v[64:67], v36 offset:80
	ds_read_b128 v[68:71], v35 offset:80
	;; [unrolled: 1-line block ×6, first 2 shown]
	s_waitcnt lgkmcnt(4)
	;;#ASMSTART
	v_dot2_f32_f16 v30, v68, v64, v30
	;;#ASMEND
	;;#ASMSTART
	v_dot2_f32_f16 v30, v69, v65, v30
	;;#ASMEND
	;; [unrolled: 3-line block ×4, first 2 shown]
	s_waitcnt lgkmcnt(0)
	;;#ASMSTART
	v_dot2_f32_f16 v3, v68, v84, v3
	;;#ASMEND
	;;#ASMSTART
	v_dot2_f32_f16 v3, v69, v85, v3
	;;#ASMEND
	;; [unrolled: 3-line block ×28, first 2 shown]
	ds_read_b128 v[64:67], v36 offset:96
	ds_read_b128 v[68:71], v35 offset:96
	ds_read_b128 v[72:75], v42 offset:4608
	ds_read_b128 v[76:79], v42 offset:9216
	ds_read_b128 v[80:83], v42 offset:13824
	ds_read_b128 v[84:87], v36 offset:1120
	s_waitcnt lgkmcnt(4)
	;;#ASMSTART
	v_dot2_f32_f16 v30, v68, v64, v30
	;;#ASMEND
	;;#ASMSTART
	v_dot2_f32_f16 v30, v69, v65, v30
	;;#ASMEND
	;; [unrolled: 3-line block ×4, first 2 shown]
	s_waitcnt lgkmcnt(0)
	;;#ASMSTART
	v_dot2_f32_f16 v3, v68, v84, v3
	;;#ASMEND
	;;#ASMSTART
	v_dot2_f32_f16 v3, v69, v85, v3
	;;#ASMEND
	;; [unrolled: 3-line block ×28, first 2 shown]
	ds_read_b128 v[64:67], v36 offset:112
	ds_read_b128 v[68:71], v35 offset:112
	;; [unrolled: 1-line block ×6, first 2 shown]
	s_waitcnt lgkmcnt(4)
	;;#ASMSTART
	v_dot2_f32_f16 v30, v68, v64, v30
	;;#ASMEND
	;;#ASMSTART
	v_dot2_f32_f16 v30, v69, v65, v30
	;;#ASMEND
	;; [unrolled: 3-line block ×4, first 2 shown]
	s_waitcnt lgkmcnt(0)
	;;#ASMSTART
	v_dot2_f32_f16 v3, v68, v84, v3
	;;#ASMEND
	;;#ASMSTART
	v_dot2_f32_f16 v3, v69, v85, v3
	;;#ASMEND
	;; [unrolled: 3-line block ×28, first 2 shown]
	s_barrier
	global_load_dwordx4 v[64:67], v[26:27], off offset:128
	global_load_dwordx4 v[68:71], v[28:29], off offset:128
	s_waitcnt vmcnt(1)
	ds_write_b128 v25, v[64:67]
	s_waitcnt vmcnt(0)
	ds_write_b128 v34, v[68:71]
	s_waitcnt lgkmcnt(0)
	s_barrier
	ds_read_b128 v[64:67], v36 offset:128
	ds_read_b128 v[68:71], v35
	ds_read_b128 v[72:75], v35 offset:4608
	ds_read_b128 v[76:79], v35 offset:9216
	;; [unrolled: 1-line block ×4, first 2 shown]
	s_waitcnt lgkmcnt(4)
	;;#ASMSTART
	v_dot2_f32_f16 v30, v68, v64, v30
	;;#ASMEND
	;;#ASMSTART
	v_dot2_f32_f16 v30, v69, v65, v30
	;;#ASMEND
	;; [unrolled: 3-line block ×4, first 2 shown]
	s_waitcnt lgkmcnt(0)
	;;#ASMSTART
	v_dot2_f32_f16 v3, v68, v84, v3
	;;#ASMEND
	;;#ASMSTART
	v_dot2_f32_f16 v3, v69, v85, v3
	;;#ASMEND
	;; [unrolled: 3-line block ×28, first 2 shown]
	ds_read_b128 v[64:67], v36 offset:144
	ds_read_b128 v[68:71], v35 offset:16
	ds_read_b128 v[72:75], v37 offset:4608
	ds_read_b128 v[76:79], v37 offset:9216
	ds_read_b128 v[80:83], v37 offset:13824
	ds_read_b128 v[84:87], v36 offset:1168
	s_waitcnt lgkmcnt(4)
	;;#ASMSTART
	v_dot2_f32_f16 v30, v68, v64, v30
	;;#ASMEND
	;;#ASMSTART
	v_dot2_f32_f16 v30, v69, v65, v30
	;;#ASMEND
	;; [unrolled: 3-line block ×4, first 2 shown]
	s_waitcnt lgkmcnt(0)
	;;#ASMSTART
	v_dot2_f32_f16 v3, v68, v84, v3
	;;#ASMEND
	;;#ASMSTART
	v_dot2_f32_f16 v3, v69, v85, v3
	;;#ASMEND
	;;#ASMSTART
	v_dot2_f32_f16 v3, v70, v86, v3
	;;#ASMEND
	;;#ASMSTART
	v_dot2_f32_f16 v3, v71, v87, v3
	;;#ASMEND
	;;#ASMSTART
	v_dot2_f32_f16 v31, v72, v64, v31
	;;#ASMEND
	;;#ASMSTART
	v_dot2_f32_f16 v31, v73, v65, v31
	;;#ASMEND
	;;#ASMSTART
	v_dot2_f32_f16 v31, v74, v66, v31
	;;#ASMEND
	;;#ASMSTART
	v_dot2_f32_f16 v31, v75, v67, v31
	;;#ASMEND
	;;#ASMSTART
	v_dot2_f32_f16 v32, v72, v84, v32
	;;#ASMEND
	;;#ASMSTART
	v_dot2_f32_f16 v32, v73, v85, v32
	;;#ASMEND
	;;#ASMSTART
	v_dot2_f32_f16 v32, v74, v86, v32
	;;#ASMEND
	;;#ASMSTART
	v_dot2_f32_f16 v32, v75, v87, v32
	;;#ASMEND
	;;#ASMSTART
	v_dot2_f32_f16 v62, v76, v64, v62
	;;#ASMEND
	;;#ASMSTART
	v_dot2_f32_f16 v62, v77, v65, v62
	;;#ASMEND
	;;#ASMSTART
	v_dot2_f32_f16 v62, v78, v66, v62
	;;#ASMEND
	;;#ASMSTART
	v_dot2_f32_f16 v62, v79, v67, v62
	;;#ASMEND
	;;#ASMSTART
	v_dot2_f32_f16 v33, v76, v84, v33
	;;#ASMEND
	;;#ASMSTART
	v_dot2_f32_f16 v33, v77, v85, v33
	;;#ASMEND
	;;#ASMSTART
	v_dot2_f32_f16 v33, v78, v86, v33
	;;#ASMEND
	;;#ASMSTART
	v_dot2_f32_f16 v33, v79, v87, v33
	;;#ASMEND
	;;#ASMSTART
	v_dot2_f32_f16 v63, v80, v64, v63
	;;#ASMEND
	;;#ASMSTART
	v_dot2_f32_f16 v63, v81, v65, v63
	;;#ASMEND
	;;#ASMSTART
	v_dot2_f32_f16 v63, v82, v66, v63
	;;#ASMEND
	;;#ASMSTART
	v_dot2_f32_f16 v63, v83, v67, v63
	;;#ASMEND
	;;#ASMSTART
	v_dot2_f32_f16 v61, v80, v84, v61
	;;#ASMEND
	;;#ASMSTART
	v_dot2_f32_f16 v61, v81, v85, v61
	;;#ASMEND
	;;#ASMSTART
	v_dot2_f32_f16 v61, v82, v86, v61
	;;#ASMEND
	;;#ASMSTART
	v_dot2_f32_f16 v61, v83, v87, v61
	;;#ASMEND
	ds_read_b128 v[64:67], v36 offset:160
	ds_read_b128 v[68:71], v35 offset:32
	;; [unrolled: 1-line block ×6, first 2 shown]
	s_waitcnt lgkmcnt(4)
	;;#ASMSTART
	v_dot2_f32_f16 v30, v68, v64, v30
	;;#ASMEND
	;;#ASMSTART
	v_dot2_f32_f16 v30, v69, v65, v30
	;;#ASMEND
	;; [unrolled: 3-line block ×4, first 2 shown]
	s_waitcnt lgkmcnt(0)
	;;#ASMSTART
	v_dot2_f32_f16 v3, v68, v84, v3
	;;#ASMEND
	;;#ASMSTART
	v_dot2_f32_f16 v3, v69, v85, v3
	;;#ASMEND
	;; [unrolled: 3-line block ×28, first 2 shown]
	ds_read_b128 v[64:67], v36 offset:176
	ds_read_b128 v[68:71], v35 offset:48
	;; [unrolled: 1-line block ×6, first 2 shown]
	s_waitcnt lgkmcnt(4)
	;;#ASMSTART
	v_dot2_f32_f16 v30, v68, v64, v30
	;;#ASMEND
	;;#ASMSTART
	v_dot2_f32_f16 v30, v69, v65, v30
	;;#ASMEND
	;; [unrolled: 3-line block ×4, first 2 shown]
	s_waitcnt lgkmcnt(0)
	;;#ASMSTART
	v_dot2_f32_f16 v3, v68, v84, v3
	;;#ASMEND
	;;#ASMSTART
	v_dot2_f32_f16 v3, v69, v85, v3
	;;#ASMEND
	;; [unrolled: 3-line block ×28, first 2 shown]
	ds_read_b128 v[64:67], v36 offset:192
	ds_read_b128 v[68:71], v35 offset:64
	;; [unrolled: 1-line block ×6, first 2 shown]
	s_waitcnt lgkmcnt(4)
	;;#ASMSTART
	v_dot2_f32_f16 v30, v68, v64, v30
	;;#ASMEND
	;;#ASMSTART
	v_dot2_f32_f16 v30, v69, v65, v30
	;;#ASMEND
	;; [unrolled: 3-line block ×4, first 2 shown]
	s_waitcnt lgkmcnt(0)
	;;#ASMSTART
	v_dot2_f32_f16 v3, v68, v84, v3
	;;#ASMEND
	;;#ASMSTART
	v_dot2_f32_f16 v3, v69, v85, v3
	;;#ASMEND
	;; [unrolled: 3-line block ×28, first 2 shown]
	ds_read_b128 v[64:67], v36 offset:208
	ds_read_b128 v[68:71], v35 offset:80
	;; [unrolled: 1-line block ×6, first 2 shown]
	s_waitcnt lgkmcnt(4)
	;;#ASMSTART
	v_dot2_f32_f16 v30, v68, v64, v30
	;;#ASMEND
	;;#ASMSTART
	v_dot2_f32_f16 v30, v69, v65, v30
	;;#ASMEND
	;; [unrolled: 3-line block ×4, first 2 shown]
	s_waitcnt lgkmcnt(0)
	;;#ASMSTART
	v_dot2_f32_f16 v3, v68, v84, v3
	;;#ASMEND
	;;#ASMSTART
	v_dot2_f32_f16 v3, v69, v85, v3
	;;#ASMEND
	;; [unrolled: 3-line block ×28, first 2 shown]
	ds_read_b128 v[64:67], v36 offset:224
	ds_read_b128 v[68:71], v35 offset:96
	;; [unrolled: 1-line block ×6, first 2 shown]
	s_waitcnt lgkmcnt(4)
	;;#ASMSTART
	v_dot2_f32_f16 v30, v68, v64, v30
	;;#ASMEND
	;;#ASMSTART
	v_dot2_f32_f16 v30, v69, v65, v30
	;;#ASMEND
	;; [unrolled: 3-line block ×4, first 2 shown]
	s_waitcnt lgkmcnt(0)
	;;#ASMSTART
	v_dot2_f32_f16 v3, v68, v84, v3
	;;#ASMEND
	;;#ASMSTART
	v_dot2_f32_f16 v3, v69, v85, v3
	;;#ASMEND
	;; [unrolled: 3-line block ×28, first 2 shown]
	ds_read_b128 v[64:67], v36 offset:240
	ds_read_b128 v[68:71], v35 offset:112
	;; [unrolled: 1-line block ×6, first 2 shown]
	s_waitcnt lgkmcnt(4)
	;;#ASMSTART
	v_dot2_f32_f16 v30, v68, v64, v30
	;;#ASMEND
	;;#ASMSTART
	v_dot2_f32_f16 v30, v69, v65, v30
	;;#ASMEND
	;; [unrolled: 3-line block ×4, first 2 shown]
	s_waitcnt lgkmcnt(0)
	;;#ASMSTART
	v_dot2_f32_f16 v3, v68, v84, v3
	;;#ASMEND
	;;#ASMSTART
	v_dot2_f32_f16 v3, v69, v85, v3
	;;#ASMEND
	;;#ASMSTART
	v_dot2_f32_f16 v3, v70, v86, v3
	;;#ASMEND
	;;#ASMSTART
	v_dot2_f32_f16 v3, v71, v87, v3
	;;#ASMEND
	;;#ASMSTART
	v_dot2_f32_f16 v31, v72, v64, v31
	;;#ASMEND
	;;#ASMSTART
	v_dot2_f32_f16 v31, v73, v65, v31
	;;#ASMEND
	;;#ASMSTART
	v_dot2_f32_f16 v31, v74, v66, v31
	;;#ASMEND
	;;#ASMSTART
	v_dot2_f32_f16 v31, v75, v67, v31
	;;#ASMEND
	;;#ASMSTART
	v_dot2_f32_f16 v32, v72, v84, v32
	;;#ASMEND
	;;#ASMSTART
	v_dot2_f32_f16 v32, v73, v85, v32
	;;#ASMEND
	;;#ASMSTART
	v_dot2_f32_f16 v32, v74, v86, v32
	;;#ASMEND
	;;#ASMSTART
	v_dot2_f32_f16 v32, v75, v87, v32
	;;#ASMEND
	;;#ASMSTART
	v_dot2_f32_f16 v62, v76, v64, v62
	;;#ASMEND
	;;#ASMSTART
	v_dot2_f32_f16 v62, v77, v65, v62
	;;#ASMEND
	;;#ASMSTART
	v_dot2_f32_f16 v62, v78, v66, v62
	;;#ASMEND
	;;#ASMSTART
	v_dot2_f32_f16 v62, v79, v67, v62
	;;#ASMEND
	;;#ASMSTART
	v_dot2_f32_f16 v33, v76, v84, v33
	;;#ASMEND
	;;#ASMSTART
	v_dot2_f32_f16 v33, v77, v85, v33
	;;#ASMEND
	;;#ASMSTART
	v_dot2_f32_f16 v33, v78, v86, v33
	;;#ASMEND
	;;#ASMSTART
	v_dot2_f32_f16 v33, v79, v87, v33
	;;#ASMEND
	;;#ASMSTART
	v_dot2_f32_f16 v63, v80, v64, v63
	;;#ASMEND
	;;#ASMSTART
	v_dot2_f32_f16 v63, v81, v65, v63
	;;#ASMEND
	;;#ASMSTART
	v_dot2_f32_f16 v63, v82, v66, v63
	;;#ASMEND
	;;#ASMSTART
	v_dot2_f32_f16 v63, v83, v67, v63
	;;#ASMEND
	;;#ASMSTART
	v_dot2_f32_f16 v61, v80, v84, v61
	;;#ASMEND
	;;#ASMSTART
	v_dot2_f32_f16 v61, v81, v85, v61
	;;#ASMEND
	;;#ASMSTART
	v_dot2_f32_f16 v61, v82, v86, v61
	;;#ASMEND
	;;#ASMSTART
	v_dot2_f32_f16 v61, v83, v87, v61
	;;#ASMEND
	s_barrier
	global_load_dwordx4 v[64:67], v[26:27], off offset:256
	global_load_dwordx4 v[68:71], v[28:29], off offset:256
	s_waitcnt vmcnt(1)
	ds_write_b128 v25, v[64:67]
	s_waitcnt vmcnt(0)
	ds_write_b128 v34, v[68:71]
	s_waitcnt lgkmcnt(0)
	s_barrier
	ds_read_b128 v[64:67], v36 offset:256
	ds_read_b128 v[68:71], v35
	ds_read_b128 v[72:75], v35 offset:4608
	ds_read_b128 v[76:79], v35 offset:9216
	ds_read_b128 v[80:83], v35 offset:13824
	ds_read_b128 v[84:87], v36 offset:1280
	s_waitcnt lgkmcnt(4)
	;;#ASMSTART
	v_dot2_f32_f16 v30, v68, v64, v30
	;;#ASMEND
	;;#ASMSTART
	v_dot2_f32_f16 v30, v69, v65, v30
	;;#ASMEND
	;; [unrolled: 3-line block ×4, first 2 shown]
	s_waitcnt lgkmcnt(0)
	;;#ASMSTART
	v_dot2_f32_f16 v3, v68, v84, v3
	;;#ASMEND
	;;#ASMSTART
	v_dot2_f32_f16 v3, v69, v85, v3
	;;#ASMEND
	;; [unrolled: 3-line block ×28, first 2 shown]
	ds_read_b128 v[64:67], v36 offset:272
	ds_read_b128 v[68:71], v35 offset:16
	;; [unrolled: 1-line block ×6, first 2 shown]
	s_waitcnt lgkmcnt(4)
	;;#ASMSTART
	v_dot2_f32_f16 v30, v68, v64, v30
	;;#ASMEND
	;;#ASMSTART
	v_dot2_f32_f16 v30, v69, v65, v30
	;;#ASMEND
	;; [unrolled: 3-line block ×4, first 2 shown]
	s_waitcnt lgkmcnt(0)
	;;#ASMSTART
	v_dot2_f32_f16 v3, v68, v84, v3
	;;#ASMEND
	;;#ASMSTART
	v_dot2_f32_f16 v3, v69, v85, v3
	;;#ASMEND
	;; [unrolled: 3-line block ×28, first 2 shown]
	ds_read_b128 v[64:67], v36 offset:288
	ds_read_b128 v[68:71], v35 offset:32
	;; [unrolled: 1-line block ×6, first 2 shown]
	s_waitcnt lgkmcnt(4)
	;;#ASMSTART
	v_dot2_f32_f16 v30, v68, v64, v30
	;;#ASMEND
	;;#ASMSTART
	v_dot2_f32_f16 v30, v69, v65, v30
	;;#ASMEND
	;; [unrolled: 3-line block ×4, first 2 shown]
	s_waitcnt lgkmcnt(0)
	;;#ASMSTART
	v_dot2_f32_f16 v3, v68, v84, v3
	;;#ASMEND
	;;#ASMSTART
	v_dot2_f32_f16 v3, v69, v85, v3
	;;#ASMEND
	;; [unrolled: 3-line block ×28, first 2 shown]
	ds_read_b128 v[64:67], v36 offset:304
	ds_read_b128 v[68:71], v35 offset:48
	;; [unrolled: 1-line block ×6, first 2 shown]
	s_waitcnt lgkmcnt(4)
	;;#ASMSTART
	v_dot2_f32_f16 v30, v68, v64, v30
	;;#ASMEND
	;;#ASMSTART
	v_dot2_f32_f16 v30, v69, v65, v30
	;;#ASMEND
	;; [unrolled: 3-line block ×4, first 2 shown]
	s_waitcnt lgkmcnt(0)
	;;#ASMSTART
	v_dot2_f32_f16 v3, v68, v84, v3
	;;#ASMEND
	;;#ASMSTART
	v_dot2_f32_f16 v3, v69, v85, v3
	;;#ASMEND
	;; [unrolled: 3-line block ×28, first 2 shown]
	ds_read_b128 v[64:67], v36 offset:320
	ds_read_b128 v[68:71], v35 offset:64
	;; [unrolled: 1-line block ×6, first 2 shown]
	s_waitcnt lgkmcnt(4)
	;;#ASMSTART
	v_dot2_f32_f16 v30, v68, v64, v30
	;;#ASMEND
	;;#ASMSTART
	v_dot2_f32_f16 v30, v69, v65, v30
	;;#ASMEND
	;; [unrolled: 3-line block ×4, first 2 shown]
	s_waitcnt lgkmcnt(0)
	;;#ASMSTART
	v_dot2_f32_f16 v3, v68, v84, v3
	;;#ASMEND
	;;#ASMSTART
	v_dot2_f32_f16 v3, v69, v85, v3
	;;#ASMEND
	;; [unrolled: 3-line block ×28, first 2 shown]
	ds_read_b128 v[64:67], v36 offset:336
	ds_read_b128 v[68:71], v35 offset:80
	;; [unrolled: 1-line block ×6, first 2 shown]
	s_waitcnt lgkmcnt(4)
	;;#ASMSTART
	v_dot2_f32_f16 v30, v68, v64, v30
	;;#ASMEND
	;;#ASMSTART
	v_dot2_f32_f16 v30, v69, v65, v30
	;;#ASMEND
	;; [unrolled: 3-line block ×4, first 2 shown]
	s_waitcnt lgkmcnt(0)
	;;#ASMSTART
	v_dot2_f32_f16 v3, v68, v84, v3
	;;#ASMEND
	;;#ASMSTART
	v_dot2_f32_f16 v3, v69, v85, v3
	;;#ASMEND
	;; [unrolled: 3-line block ×28, first 2 shown]
	ds_read_b128 v[64:67], v36 offset:352
	ds_read_b128 v[68:71], v35 offset:96
	;; [unrolled: 1-line block ×6, first 2 shown]
	s_waitcnt lgkmcnt(4)
	;;#ASMSTART
	v_dot2_f32_f16 v30, v68, v64, v30
	;;#ASMEND
	;;#ASMSTART
	v_dot2_f32_f16 v30, v69, v65, v30
	;;#ASMEND
	;; [unrolled: 3-line block ×4, first 2 shown]
	s_waitcnt lgkmcnt(0)
	;;#ASMSTART
	v_dot2_f32_f16 v3, v68, v84, v3
	;;#ASMEND
	;;#ASMSTART
	v_dot2_f32_f16 v3, v69, v85, v3
	;;#ASMEND
	;; [unrolled: 3-line block ×28, first 2 shown]
	ds_read_b128 v[64:67], v36 offset:368
	ds_read_b128 v[68:71], v35 offset:112
	;; [unrolled: 1-line block ×6, first 2 shown]
	s_waitcnt lgkmcnt(4)
	;;#ASMSTART
	v_dot2_f32_f16 v30, v68, v64, v30
	;;#ASMEND
	;;#ASMSTART
	v_dot2_f32_f16 v30, v69, v65, v30
	;;#ASMEND
	;; [unrolled: 3-line block ×4, first 2 shown]
	s_waitcnt lgkmcnt(0)
	;;#ASMSTART
	v_dot2_f32_f16 v3, v68, v84, v3
	;;#ASMEND
	;;#ASMSTART
	v_dot2_f32_f16 v3, v69, v85, v3
	;;#ASMEND
	;;#ASMSTART
	v_dot2_f32_f16 v3, v70, v86, v3
	;;#ASMEND
	;;#ASMSTART
	v_dot2_f32_f16 v3, v71, v87, v3
	;;#ASMEND
	;;#ASMSTART
	v_dot2_f32_f16 v31, v72, v64, v31
	;;#ASMEND
	;;#ASMSTART
	v_dot2_f32_f16 v31, v73, v65, v31
	;;#ASMEND
	;;#ASMSTART
	v_dot2_f32_f16 v31, v74, v66, v31
	;;#ASMEND
	;;#ASMSTART
	v_dot2_f32_f16 v31, v75, v67, v31
	;;#ASMEND
	;;#ASMSTART
	v_dot2_f32_f16 v32, v72, v84, v32
	;;#ASMEND
	;;#ASMSTART
	v_dot2_f32_f16 v32, v73, v85, v32
	;;#ASMEND
	;;#ASMSTART
	v_dot2_f32_f16 v32, v74, v86, v32
	;;#ASMEND
	;;#ASMSTART
	v_dot2_f32_f16 v32, v75, v87, v32
	;;#ASMEND
	;;#ASMSTART
	v_dot2_f32_f16 v62, v76, v64, v62
	;;#ASMEND
	;;#ASMSTART
	v_dot2_f32_f16 v62, v77, v65, v62
	;;#ASMEND
	;;#ASMSTART
	v_dot2_f32_f16 v62, v78, v66, v62
	;;#ASMEND
	;;#ASMSTART
	v_dot2_f32_f16 v62, v79, v67, v62
	;;#ASMEND
	;;#ASMSTART
	v_dot2_f32_f16 v33, v76, v84, v33
	;;#ASMEND
	;;#ASMSTART
	v_dot2_f32_f16 v33, v77, v85, v33
	;;#ASMEND
	;;#ASMSTART
	v_dot2_f32_f16 v33, v78, v86, v33
	;;#ASMEND
	;;#ASMSTART
	v_dot2_f32_f16 v33, v79, v87, v33
	;;#ASMEND
	;;#ASMSTART
	v_dot2_f32_f16 v63, v80, v64, v63
	;;#ASMEND
	;;#ASMSTART
	v_dot2_f32_f16 v63, v81, v65, v63
	;;#ASMEND
	;;#ASMSTART
	v_dot2_f32_f16 v63, v82, v66, v63
	;;#ASMEND
	;;#ASMSTART
	v_dot2_f32_f16 v63, v83, v67, v63
	;;#ASMEND
	;;#ASMSTART
	v_dot2_f32_f16 v61, v80, v84, v61
	;;#ASMEND
	;;#ASMSTART
	v_dot2_f32_f16 v61, v81, v85, v61
	;;#ASMEND
	;;#ASMSTART
	v_dot2_f32_f16 v61, v82, v86, v61
	;;#ASMEND
	;;#ASMSTART
	v_dot2_f32_f16 v61, v83, v87, v61
	;;#ASMEND
	s_barrier
	global_load_dwordx4 v[64:67], v[26:27], off offset:384
	global_load_dwordx4 v[68:71], v[28:29], off offset:384
	s_waitcnt vmcnt(1)
	ds_write_b128 v25, v[64:67]
	s_waitcnt vmcnt(0)
	ds_write_b128 v34, v[68:71]
	s_waitcnt lgkmcnt(0)
	s_barrier
	ds_read_b128 v[64:67], v36 offset:384
	ds_read_b128 v[68:71], v35
	ds_read_b128 v[72:75], v35 offset:4608
	ds_read_b128 v[76:79], v35 offset:9216
	;; [unrolled: 1-line block ×4, first 2 shown]
	s_waitcnt lgkmcnt(4)
	;;#ASMSTART
	v_dot2_f32_f16 v30, v68, v64, v30
	;;#ASMEND
	;;#ASMSTART
	v_dot2_f32_f16 v30, v69, v65, v30
	;;#ASMEND
	;; [unrolled: 3-line block ×4, first 2 shown]
	s_waitcnt lgkmcnt(0)
	;;#ASMSTART
	v_dot2_f32_f16 v3, v68, v84, v3
	;;#ASMEND
	;;#ASMSTART
	v_dot2_f32_f16 v3, v69, v85, v3
	;;#ASMEND
	;; [unrolled: 3-line block ×28, first 2 shown]
	ds_read_b128 v[64:67], v36 offset:400
	ds_read_b128 v[68:71], v35 offset:16
	;; [unrolled: 1-line block ×6, first 2 shown]
	s_waitcnt lgkmcnt(4)
	;;#ASMSTART
	v_dot2_f32_f16 v30, v68, v64, v30
	;;#ASMEND
	;;#ASMSTART
	v_dot2_f32_f16 v30, v69, v65, v30
	;;#ASMEND
	;; [unrolled: 3-line block ×4, first 2 shown]
	s_waitcnt lgkmcnt(0)
	;;#ASMSTART
	v_dot2_f32_f16 v3, v68, v84, v3
	;;#ASMEND
	;;#ASMSTART
	v_dot2_f32_f16 v3, v69, v85, v3
	;;#ASMEND
	;; [unrolled: 3-line block ×28, first 2 shown]
	ds_read_b128 v[64:67], v36 offset:416
	ds_read_b128 v[68:71], v35 offset:32
	;; [unrolled: 1-line block ×6, first 2 shown]
	s_waitcnt lgkmcnt(4)
	;;#ASMSTART
	v_dot2_f32_f16 v30, v68, v64, v30
	;;#ASMEND
	;;#ASMSTART
	v_dot2_f32_f16 v30, v69, v65, v30
	;;#ASMEND
	;; [unrolled: 3-line block ×4, first 2 shown]
	s_waitcnt lgkmcnt(0)
	;;#ASMSTART
	v_dot2_f32_f16 v3, v68, v84, v3
	;;#ASMEND
	;;#ASMSTART
	v_dot2_f32_f16 v3, v69, v85, v3
	;;#ASMEND
	;; [unrolled: 3-line block ×28, first 2 shown]
	ds_read_b128 v[64:67], v36 offset:432
	ds_read_b128 v[68:71], v35 offset:48
	;; [unrolled: 1-line block ×6, first 2 shown]
	s_waitcnt lgkmcnt(4)
	;;#ASMSTART
	v_dot2_f32_f16 v30, v68, v64, v30
	;;#ASMEND
	;;#ASMSTART
	v_dot2_f32_f16 v30, v69, v65, v30
	;;#ASMEND
	;; [unrolled: 3-line block ×4, first 2 shown]
	s_waitcnt lgkmcnt(0)
	;;#ASMSTART
	v_dot2_f32_f16 v3, v68, v84, v3
	;;#ASMEND
	;;#ASMSTART
	v_dot2_f32_f16 v3, v69, v85, v3
	;;#ASMEND
	;; [unrolled: 3-line block ×28, first 2 shown]
	ds_read_b128 v[64:67], v36 offset:448
	ds_read_b128 v[68:71], v35 offset:64
	;; [unrolled: 1-line block ×6, first 2 shown]
	s_waitcnt lgkmcnt(4)
	;;#ASMSTART
	v_dot2_f32_f16 v30, v68, v64, v30
	;;#ASMEND
	;;#ASMSTART
	v_dot2_f32_f16 v30, v69, v65, v30
	;;#ASMEND
	;; [unrolled: 3-line block ×4, first 2 shown]
	s_waitcnt lgkmcnt(0)
	;;#ASMSTART
	v_dot2_f32_f16 v3, v68, v84, v3
	;;#ASMEND
	;;#ASMSTART
	v_dot2_f32_f16 v3, v69, v85, v3
	;;#ASMEND
	;; [unrolled: 3-line block ×28, first 2 shown]
	ds_read_b128 v[64:67], v36 offset:464
	ds_read_b128 v[68:71], v35 offset:80
	;; [unrolled: 1-line block ×6, first 2 shown]
	s_waitcnt lgkmcnt(4)
	;;#ASMSTART
	v_dot2_f32_f16 v30, v68, v64, v30
	;;#ASMEND
	;;#ASMSTART
	v_dot2_f32_f16 v30, v69, v65, v30
	;;#ASMEND
	;; [unrolled: 3-line block ×4, first 2 shown]
	s_waitcnt lgkmcnt(0)
	;;#ASMSTART
	v_dot2_f32_f16 v3, v68, v84, v3
	;;#ASMEND
	;;#ASMSTART
	v_dot2_f32_f16 v3, v69, v85, v3
	;;#ASMEND
	;;#ASMSTART
	v_dot2_f32_f16 v3, v70, v86, v3
	;;#ASMEND
	;;#ASMSTART
	v_dot2_f32_f16 v3, v71, v87, v3
	;;#ASMEND
	;;#ASMSTART
	v_dot2_f32_f16 v31, v72, v64, v31
	;;#ASMEND
	;;#ASMSTART
	v_dot2_f32_f16 v31, v73, v65, v31
	;;#ASMEND
	;;#ASMSTART
	v_dot2_f32_f16 v31, v74, v66, v31
	;;#ASMEND
	;;#ASMSTART
	v_dot2_f32_f16 v31, v75, v67, v31
	;;#ASMEND
	;;#ASMSTART
	v_dot2_f32_f16 v32, v72, v84, v32
	;;#ASMEND
	;;#ASMSTART
	v_dot2_f32_f16 v32, v73, v85, v32
	;;#ASMEND
	;;#ASMSTART
	v_dot2_f32_f16 v32, v74, v86, v32
	;;#ASMEND
	;;#ASMSTART
	v_dot2_f32_f16 v32, v75, v87, v32
	;;#ASMEND
	;;#ASMSTART
	v_dot2_f32_f16 v62, v76, v64, v62
	;;#ASMEND
	;;#ASMSTART
	v_dot2_f32_f16 v62, v77, v65, v62
	;;#ASMEND
	;;#ASMSTART
	v_dot2_f32_f16 v62, v78, v66, v62
	;;#ASMEND
	;;#ASMSTART
	v_dot2_f32_f16 v62, v79, v67, v62
	;;#ASMEND
	;;#ASMSTART
	v_dot2_f32_f16 v33, v76, v84, v33
	;;#ASMEND
	;;#ASMSTART
	v_dot2_f32_f16 v33, v77, v85, v33
	;;#ASMEND
	;;#ASMSTART
	v_dot2_f32_f16 v33, v78, v86, v33
	;;#ASMEND
	;;#ASMSTART
	v_dot2_f32_f16 v33, v79, v87, v33
	;;#ASMEND
	;;#ASMSTART
	v_dot2_f32_f16 v63, v80, v64, v63
	;;#ASMEND
	;;#ASMSTART
	v_dot2_f32_f16 v63, v81, v65, v63
	;;#ASMEND
	;;#ASMSTART
	v_dot2_f32_f16 v63, v82, v66, v63
	;;#ASMEND
	;;#ASMSTART
	v_dot2_f32_f16 v63, v83, v67, v63
	;;#ASMEND
	;;#ASMSTART
	v_dot2_f32_f16 v61, v80, v84, v61
	;;#ASMEND
	;;#ASMSTART
	v_dot2_f32_f16 v61, v81, v85, v61
	;;#ASMEND
	;;#ASMSTART
	v_dot2_f32_f16 v61, v82, v86, v61
	;;#ASMEND
	;;#ASMSTART
	v_dot2_f32_f16 v61, v83, v87, v61
	;;#ASMEND
	ds_read_b128 v[64:67], v36 offset:480
	ds_read_b128 v[68:71], v35 offset:96
	;; [unrolled: 1-line block ×6, first 2 shown]
	s_waitcnt lgkmcnt(4)
	;;#ASMSTART
	v_dot2_f32_f16 v30, v68, v64, v30
	;;#ASMEND
	;;#ASMSTART
	v_dot2_f32_f16 v30, v69, v65, v30
	;;#ASMEND
	;; [unrolled: 3-line block ×4, first 2 shown]
	s_waitcnt lgkmcnt(0)
	;;#ASMSTART
	v_dot2_f32_f16 v3, v68, v84, v3
	;;#ASMEND
	;;#ASMSTART
	v_dot2_f32_f16 v3, v69, v85, v3
	;;#ASMEND
	;; [unrolled: 3-line block ×28, first 2 shown]
	ds_read_b128 v[64:67], v36 offset:496
	ds_read_b128 v[68:71], v35 offset:112
	;; [unrolled: 1-line block ×6, first 2 shown]
	s_waitcnt lgkmcnt(4)
	;;#ASMSTART
	v_dot2_f32_f16 v30, v68, v64, v30
	;;#ASMEND
	;;#ASMSTART
	v_dot2_f32_f16 v30, v69, v65, v30
	;;#ASMEND
	;; [unrolled: 3-line block ×4, first 2 shown]
	s_waitcnt lgkmcnt(0)
	;;#ASMSTART
	v_dot2_f32_f16 v3, v68, v84, v3
	;;#ASMEND
	;;#ASMSTART
	v_dot2_f32_f16 v3, v69, v85, v3
	;;#ASMEND
	;;#ASMSTART
	v_dot2_f32_f16 v3, v70, v86, v3
	;;#ASMEND
	;;#ASMSTART
	v_dot2_f32_f16 v3, v71, v87, v3
	;;#ASMEND
	;;#ASMSTART
	v_dot2_f32_f16 v31, v72, v64, v31
	;;#ASMEND
	;;#ASMSTART
	v_dot2_f32_f16 v31, v73, v65, v31
	;;#ASMEND
	;;#ASMSTART
	v_dot2_f32_f16 v31, v74, v66, v31
	;;#ASMEND
	;;#ASMSTART
	v_dot2_f32_f16 v31, v75, v67, v31
	;;#ASMEND
	;;#ASMSTART
	v_dot2_f32_f16 v32, v72, v84, v32
	;;#ASMEND
	;;#ASMSTART
	v_dot2_f32_f16 v32, v73, v85, v32
	;;#ASMEND
	;;#ASMSTART
	v_dot2_f32_f16 v32, v74, v86, v32
	;;#ASMEND
	;;#ASMSTART
	v_dot2_f32_f16 v32, v75, v87, v32
	;;#ASMEND
	;;#ASMSTART
	v_dot2_f32_f16 v62, v76, v64, v62
	;;#ASMEND
	;;#ASMSTART
	v_dot2_f32_f16 v62, v77, v65, v62
	;;#ASMEND
	;;#ASMSTART
	v_dot2_f32_f16 v62, v78, v66, v62
	;;#ASMEND
	;;#ASMSTART
	v_dot2_f32_f16 v62, v79, v67, v62
	;;#ASMEND
	;;#ASMSTART
	v_dot2_f32_f16 v33, v76, v84, v33
	;;#ASMEND
	;;#ASMSTART
	v_dot2_f32_f16 v33, v77, v85, v33
	;;#ASMEND
	;;#ASMSTART
	v_dot2_f32_f16 v33, v78, v86, v33
	;;#ASMEND
	;;#ASMSTART
	v_dot2_f32_f16 v33, v79, v87, v33
	;;#ASMEND
	;;#ASMSTART
	v_dot2_f32_f16 v63, v80, v64, v63
	;;#ASMEND
	;;#ASMSTART
	v_dot2_f32_f16 v63, v81, v65, v63
	;;#ASMEND
	;;#ASMSTART
	v_dot2_f32_f16 v63, v82, v66, v63
	;;#ASMEND
	;;#ASMSTART
	v_dot2_f32_f16 v63, v83, v67, v63
	;;#ASMEND
	;;#ASMSTART
	v_dot2_f32_f16 v61, v80, v84, v61
	;;#ASMEND
	;;#ASMSTART
	v_dot2_f32_f16 v61, v81, v85, v61
	;;#ASMEND
	;;#ASMSTART
	v_dot2_f32_f16 v61, v82, v86, v61
	;;#ASMEND
	;;#ASMSTART
	v_dot2_f32_f16 v61, v83, v87, v61
	;;#ASMEND
	s_barrier
	global_load_dwordx4 v[64:67], v[26:27], off offset:512
	global_load_dwordx4 v[68:71], v[28:29], off offset:512
	s_waitcnt vmcnt(1)
	ds_write_b128 v25, v[64:67]
	s_waitcnt vmcnt(0)
	ds_write_b128 v34, v[68:71]
	s_waitcnt lgkmcnt(0)
	s_barrier
	ds_read_b128 v[64:67], v36 offset:512
	ds_read_b128 v[68:71], v35
	ds_read_b128 v[72:75], v35 offset:4608
	ds_read_b128 v[76:79], v35 offset:9216
	;; [unrolled: 1-line block ×4, first 2 shown]
	s_waitcnt lgkmcnt(4)
	;;#ASMSTART
	v_dot2_f32_f16 v30, v68, v64, v30
	;;#ASMEND
	;;#ASMSTART
	v_dot2_f32_f16 v30, v69, v65, v30
	;;#ASMEND
	;; [unrolled: 3-line block ×4, first 2 shown]
	s_waitcnt lgkmcnt(0)
	;;#ASMSTART
	v_dot2_f32_f16 v3, v68, v84, v3
	;;#ASMEND
	;;#ASMSTART
	v_dot2_f32_f16 v3, v69, v85, v3
	;;#ASMEND
	;; [unrolled: 3-line block ×28, first 2 shown]
	ds_read_b128 v[64:67], v36 offset:528
	ds_read_b128 v[68:71], v35 offset:16
	;; [unrolled: 1-line block ×6, first 2 shown]
	s_waitcnt lgkmcnt(4)
	;;#ASMSTART
	v_dot2_f32_f16 v30, v68, v64, v30
	;;#ASMEND
	;;#ASMSTART
	v_dot2_f32_f16 v30, v69, v65, v30
	;;#ASMEND
	;; [unrolled: 3-line block ×4, first 2 shown]
	s_waitcnt lgkmcnt(0)
	;;#ASMSTART
	v_dot2_f32_f16 v3, v68, v84, v3
	;;#ASMEND
	;;#ASMSTART
	v_dot2_f32_f16 v3, v69, v85, v3
	;;#ASMEND
	;; [unrolled: 3-line block ×28, first 2 shown]
	ds_read_b128 v[64:67], v36 offset:544
	ds_read_b128 v[68:71], v35 offset:32
	;; [unrolled: 1-line block ×6, first 2 shown]
	s_waitcnt lgkmcnt(4)
	;;#ASMSTART
	v_dot2_f32_f16 v30, v68, v64, v30
	;;#ASMEND
	;;#ASMSTART
	v_dot2_f32_f16 v30, v69, v65, v30
	;;#ASMEND
	;; [unrolled: 3-line block ×4, first 2 shown]
	s_waitcnt lgkmcnt(0)
	;;#ASMSTART
	v_dot2_f32_f16 v3, v68, v84, v3
	;;#ASMEND
	;;#ASMSTART
	v_dot2_f32_f16 v3, v69, v85, v3
	;;#ASMEND
	;; [unrolled: 3-line block ×28, first 2 shown]
	ds_read_b128 v[64:67], v36 offset:560
	ds_read_b128 v[68:71], v35 offset:48
	;; [unrolled: 1-line block ×6, first 2 shown]
	s_waitcnt lgkmcnt(4)
	;;#ASMSTART
	v_dot2_f32_f16 v30, v68, v64, v30
	;;#ASMEND
	;;#ASMSTART
	v_dot2_f32_f16 v30, v69, v65, v30
	;;#ASMEND
	;; [unrolled: 3-line block ×4, first 2 shown]
	s_waitcnt lgkmcnt(0)
	;;#ASMSTART
	v_dot2_f32_f16 v3, v68, v84, v3
	;;#ASMEND
	;;#ASMSTART
	v_dot2_f32_f16 v3, v69, v85, v3
	;;#ASMEND
	;; [unrolled: 3-line block ×28, first 2 shown]
	ds_read_b128 v[64:67], v36 offset:576
	ds_read_b128 v[68:71], v35 offset:64
	;; [unrolled: 1-line block ×6, first 2 shown]
	s_waitcnt lgkmcnt(4)
	;;#ASMSTART
	v_dot2_f32_f16 v30, v68, v64, v30
	;;#ASMEND
	;;#ASMSTART
	v_dot2_f32_f16 v30, v69, v65, v30
	;;#ASMEND
	;; [unrolled: 3-line block ×4, first 2 shown]
	s_waitcnt lgkmcnt(0)
	;;#ASMSTART
	v_dot2_f32_f16 v3, v68, v84, v3
	;;#ASMEND
	;;#ASMSTART
	v_dot2_f32_f16 v3, v69, v85, v3
	;;#ASMEND
	;; [unrolled: 3-line block ×28, first 2 shown]
	ds_read_b128 v[64:67], v36 offset:592
	ds_read_b128 v[68:71], v35 offset:80
	;; [unrolled: 1-line block ×6, first 2 shown]
	s_waitcnt lgkmcnt(4)
	;;#ASMSTART
	v_dot2_f32_f16 v30, v68, v64, v30
	;;#ASMEND
	;;#ASMSTART
	v_dot2_f32_f16 v30, v69, v65, v30
	;;#ASMEND
	;; [unrolled: 3-line block ×4, first 2 shown]
	s_waitcnt lgkmcnt(0)
	;;#ASMSTART
	v_dot2_f32_f16 v3, v68, v84, v3
	;;#ASMEND
	;;#ASMSTART
	v_dot2_f32_f16 v3, v69, v85, v3
	;;#ASMEND
	;; [unrolled: 3-line block ×28, first 2 shown]
	ds_read_b128 v[64:67], v36 offset:608
	ds_read_b128 v[68:71], v35 offset:96
	;; [unrolled: 1-line block ×6, first 2 shown]
	s_waitcnt lgkmcnt(4)
	;;#ASMSTART
	v_dot2_f32_f16 v30, v68, v64, v30
	;;#ASMEND
	;;#ASMSTART
	v_dot2_f32_f16 v30, v69, v65, v30
	;;#ASMEND
	;; [unrolled: 3-line block ×4, first 2 shown]
	s_waitcnt lgkmcnt(0)
	;;#ASMSTART
	v_dot2_f32_f16 v3, v68, v84, v3
	;;#ASMEND
	;;#ASMSTART
	v_dot2_f32_f16 v3, v69, v85, v3
	;;#ASMEND
	;;#ASMSTART
	v_dot2_f32_f16 v3, v70, v86, v3
	;;#ASMEND
	;;#ASMSTART
	v_dot2_f32_f16 v3, v71, v87, v3
	;;#ASMEND
	;;#ASMSTART
	v_dot2_f32_f16 v31, v72, v64, v31
	;;#ASMEND
	;;#ASMSTART
	v_dot2_f32_f16 v31, v73, v65, v31
	;;#ASMEND
	;;#ASMSTART
	v_dot2_f32_f16 v31, v74, v66, v31
	;;#ASMEND
	;;#ASMSTART
	v_dot2_f32_f16 v31, v75, v67, v31
	;;#ASMEND
	;;#ASMSTART
	v_dot2_f32_f16 v32, v72, v84, v32
	;;#ASMEND
	;;#ASMSTART
	v_dot2_f32_f16 v32, v73, v85, v32
	;;#ASMEND
	;;#ASMSTART
	v_dot2_f32_f16 v32, v74, v86, v32
	;;#ASMEND
	;;#ASMSTART
	v_dot2_f32_f16 v32, v75, v87, v32
	;;#ASMEND
	;;#ASMSTART
	v_dot2_f32_f16 v62, v76, v64, v62
	;;#ASMEND
	;;#ASMSTART
	v_dot2_f32_f16 v62, v77, v65, v62
	;;#ASMEND
	;;#ASMSTART
	v_dot2_f32_f16 v62, v78, v66, v62
	;;#ASMEND
	;;#ASMSTART
	v_dot2_f32_f16 v62, v79, v67, v62
	;;#ASMEND
	;;#ASMSTART
	v_dot2_f32_f16 v33, v76, v84, v33
	;;#ASMEND
	;;#ASMSTART
	v_dot2_f32_f16 v33, v77, v85, v33
	;;#ASMEND
	;;#ASMSTART
	v_dot2_f32_f16 v33, v78, v86, v33
	;;#ASMEND
	;;#ASMSTART
	v_dot2_f32_f16 v33, v79, v87, v33
	;;#ASMEND
	;;#ASMSTART
	v_dot2_f32_f16 v63, v80, v64, v63
	;;#ASMEND
	;;#ASMSTART
	v_dot2_f32_f16 v63, v81, v65, v63
	;;#ASMEND
	;;#ASMSTART
	v_dot2_f32_f16 v63, v82, v66, v63
	;;#ASMEND
	;;#ASMSTART
	v_dot2_f32_f16 v63, v83, v67, v63
	;;#ASMEND
	;;#ASMSTART
	v_dot2_f32_f16 v61, v80, v84, v61
	;;#ASMEND
	;;#ASMSTART
	v_dot2_f32_f16 v61, v81, v85, v61
	;;#ASMEND
	;;#ASMSTART
	v_dot2_f32_f16 v61, v82, v86, v61
	;;#ASMEND
	;;#ASMSTART
	v_dot2_f32_f16 v61, v83, v87, v61
	;;#ASMEND
	ds_read_b128 v[64:67], v36 offset:624
	ds_read_b128 v[68:71], v35 offset:112
	;; [unrolled: 1-line block ×6, first 2 shown]
	s_waitcnt lgkmcnt(4)
	;;#ASMSTART
	v_dot2_f32_f16 v30, v68, v64, v30
	;;#ASMEND
	;;#ASMSTART
	v_dot2_f32_f16 v30, v69, v65, v30
	;;#ASMEND
	;; [unrolled: 3-line block ×4, first 2 shown]
	s_waitcnt lgkmcnt(0)
	;;#ASMSTART
	v_dot2_f32_f16 v3, v68, v84, v3
	;;#ASMEND
	;;#ASMSTART
	v_dot2_f32_f16 v3, v69, v85, v3
	;;#ASMEND
	;; [unrolled: 3-line block ×28, first 2 shown]
	s_barrier
	global_load_dwordx4 v[64:67], v[26:27], off offset:640
	global_load_dwordx4 v[68:71], v[28:29], off offset:640
	s_waitcnt vmcnt(1)
	ds_write_b128 v25, v[64:67]
	s_waitcnt vmcnt(0)
	ds_write_b128 v34, v[68:71]
	s_waitcnt lgkmcnt(0)
	s_barrier
	ds_read_b128 v[64:67], v36 offset:640
	ds_read_b128 v[68:71], v35
	ds_read_b128 v[72:75], v35 offset:4608
	ds_read_b128 v[76:79], v35 offset:9216
	;; [unrolled: 1-line block ×4, first 2 shown]
	s_waitcnt lgkmcnt(4)
	;;#ASMSTART
	v_dot2_f32_f16 v30, v68, v64, v30
	;;#ASMEND
	;;#ASMSTART
	v_dot2_f32_f16 v30, v69, v65, v30
	;;#ASMEND
	;; [unrolled: 3-line block ×4, first 2 shown]
	s_waitcnt lgkmcnt(0)
	;;#ASMSTART
	v_dot2_f32_f16 v3, v68, v84, v3
	;;#ASMEND
	;;#ASMSTART
	v_dot2_f32_f16 v3, v69, v85, v3
	;;#ASMEND
	;; [unrolled: 3-line block ×28, first 2 shown]
	ds_read_b128 v[64:67], v36 offset:656
	ds_read_b128 v[68:71], v35 offset:16
	;; [unrolled: 1-line block ×6, first 2 shown]
	s_waitcnt lgkmcnt(4)
	;;#ASMSTART
	v_dot2_f32_f16 v30, v68, v64, v30
	;;#ASMEND
	;;#ASMSTART
	v_dot2_f32_f16 v30, v69, v65, v30
	;;#ASMEND
	;; [unrolled: 3-line block ×4, first 2 shown]
	s_waitcnt lgkmcnt(0)
	;;#ASMSTART
	v_dot2_f32_f16 v3, v68, v84, v3
	;;#ASMEND
	;;#ASMSTART
	v_dot2_f32_f16 v3, v69, v85, v3
	;;#ASMEND
	;; [unrolled: 3-line block ×28, first 2 shown]
	ds_read_b128 v[64:67], v36 offset:672
	ds_read_b128 v[68:71], v35 offset:32
	;; [unrolled: 1-line block ×6, first 2 shown]
	s_waitcnt lgkmcnt(4)
	;;#ASMSTART
	v_dot2_f32_f16 v30, v68, v64, v30
	;;#ASMEND
	;;#ASMSTART
	v_dot2_f32_f16 v30, v69, v65, v30
	;;#ASMEND
	;; [unrolled: 3-line block ×4, first 2 shown]
	s_waitcnt lgkmcnt(0)
	;;#ASMSTART
	v_dot2_f32_f16 v3, v68, v84, v3
	;;#ASMEND
	;;#ASMSTART
	v_dot2_f32_f16 v3, v69, v85, v3
	;;#ASMEND
	;; [unrolled: 3-line block ×28, first 2 shown]
	ds_read_b128 v[64:67], v36 offset:688
	ds_read_b128 v[68:71], v35 offset:48
	;; [unrolled: 1-line block ×6, first 2 shown]
	s_waitcnt lgkmcnt(4)
	;;#ASMSTART
	v_dot2_f32_f16 v30, v68, v64, v30
	;;#ASMEND
	;;#ASMSTART
	v_dot2_f32_f16 v30, v69, v65, v30
	;;#ASMEND
	;; [unrolled: 3-line block ×4, first 2 shown]
	s_waitcnt lgkmcnt(0)
	;;#ASMSTART
	v_dot2_f32_f16 v3, v68, v84, v3
	;;#ASMEND
	;;#ASMSTART
	v_dot2_f32_f16 v3, v69, v85, v3
	;;#ASMEND
	;;#ASMSTART
	v_dot2_f32_f16 v3, v70, v86, v3
	;;#ASMEND
	;;#ASMSTART
	v_dot2_f32_f16 v3, v71, v87, v3
	;;#ASMEND
	;;#ASMSTART
	v_dot2_f32_f16 v31, v72, v64, v31
	;;#ASMEND
	;;#ASMSTART
	v_dot2_f32_f16 v31, v73, v65, v31
	;;#ASMEND
	;;#ASMSTART
	v_dot2_f32_f16 v31, v74, v66, v31
	;;#ASMEND
	;;#ASMSTART
	v_dot2_f32_f16 v31, v75, v67, v31
	;;#ASMEND
	;;#ASMSTART
	v_dot2_f32_f16 v32, v72, v84, v32
	;;#ASMEND
	;;#ASMSTART
	v_dot2_f32_f16 v32, v73, v85, v32
	;;#ASMEND
	;;#ASMSTART
	v_dot2_f32_f16 v32, v74, v86, v32
	;;#ASMEND
	;;#ASMSTART
	v_dot2_f32_f16 v32, v75, v87, v32
	;;#ASMEND
	;;#ASMSTART
	v_dot2_f32_f16 v62, v76, v64, v62
	;;#ASMEND
	;;#ASMSTART
	v_dot2_f32_f16 v62, v77, v65, v62
	;;#ASMEND
	;;#ASMSTART
	v_dot2_f32_f16 v62, v78, v66, v62
	;;#ASMEND
	;;#ASMSTART
	v_dot2_f32_f16 v62, v79, v67, v62
	;;#ASMEND
	;;#ASMSTART
	v_dot2_f32_f16 v33, v76, v84, v33
	;;#ASMEND
	;;#ASMSTART
	v_dot2_f32_f16 v33, v77, v85, v33
	;;#ASMEND
	;;#ASMSTART
	v_dot2_f32_f16 v33, v78, v86, v33
	;;#ASMEND
	;;#ASMSTART
	v_dot2_f32_f16 v33, v79, v87, v33
	;;#ASMEND
	;;#ASMSTART
	v_dot2_f32_f16 v63, v80, v64, v63
	;;#ASMEND
	;;#ASMSTART
	v_dot2_f32_f16 v63, v81, v65, v63
	;;#ASMEND
	;;#ASMSTART
	v_dot2_f32_f16 v63, v82, v66, v63
	;;#ASMEND
	;;#ASMSTART
	v_dot2_f32_f16 v63, v83, v67, v63
	;;#ASMEND
	;;#ASMSTART
	v_dot2_f32_f16 v61, v80, v84, v61
	;;#ASMEND
	;;#ASMSTART
	v_dot2_f32_f16 v61, v81, v85, v61
	;;#ASMEND
	;;#ASMSTART
	v_dot2_f32_f16 v61, v82, v86, v61
	;;#ASMEND
	;;#ASMSTART
	v_dot2_f32_f16 v61, v83, v87, v61
	;;#ASMEND
	ds_read_b128 v[64:67], v36 offset:704
	ds_read_b128 v[68:71], v35 offset:64
	;; [unrolled: 1-line block ×6, first 2 shown]
	s_waitcnt lgkmcnt(4)
	;;#ASMSTART
	v_dot2_f32_f16 v30, v68, v64, v30
	;;#ASMEND
	;;#ASMSTART
	v_dot2_f32_f16 v30, v69, v65, v30
	;;#ASMEND
	;; [unrolled: 3-line block ×4, first 2 shown]
	s_waitcnt lgkmcnt(0)
	;;#ASMSTART
	v_dot2_f32_f16 v3, v68, v84, v3
	;;#ASMEND
	;;#ASMSTART
	v_dot2_f32_f16 v3, v69, v85, v3
	;;#ASMEND
	;; [unrolled: 3-line block ×28, first 2 shown]
	ds_read_b128 v[64:67], v36 offset:720
	ds_read_b128 v[68:71], v35 offset:80
	;; [unrolled: 1-line block ×6, first 2 shown]
	s_waitcnt lgkmcnt(4)
	;;#ASMSTART
	v_dot2_f32_f16 v30, v68, v64, v30
	;;#ASMEND
	;;#ASMSTART
	v_dot2_f32_f16 v30, v69, v65, v30
	;;#ASMEND
	;; [unrolled: 3-line block ×4, first 2 shown]
	s_waitcnt lgkmcnt(0)
	;;#ASMSTART
	v_dot2_f32_f16 v3, v68, v84, v3
	;;#ASMEND
	;;#ASMSTART
	v_dot2_f32_f16 v3, v69, v85, v3
	;;#ASMEND
	;; [unrolled: 3-line block ×28, first 2 shown]
	ds_read_b128 v[64:67], v36 offset:736
	ds_read_b128 v[68:71], v35 offset:96
	;; [unrolled: 1-line block ×6, first 2 shown]
	s_waitcnt lgkmcnt(4)
	;;#ASMSTART
	v_dot2_f32_f16 v30, v68, v64, v30
	;;#ASMEND
	;;#ASMSTART
	v_dot2_f32_f16 v30, v69, v65, v30
	;;#ASMEND
	;; [unrolled: 3-line block ×4, first 2 shown]
	s_waitcnt lgkmcnt(0)
	;;#ASMSTART
	v_dot2_f32_f16 v3, v68, v84, v3
	;;#ASMEND
	;;#ASMSTART
	v_dot2_f32_f16 v3, v69, v85, v3
	;;#ASMEND
	;; [unrolled: 3-line block ×28, first 2 shown]
	ds_read_b128 v[64:67], v36 offset:752
	ds_read_b128 v[68:71], v35 offset:112
	;; [unrolled: 1-line block ×6, first 2 shown]
	s_waitcnt lgkmcnt(4)
	;;#ASMSTART
	v_dot2_f32_f16 v30, v68, v64, v30
	;;#ASMEND
	;;#ASMSTART
	v_dot2_f32_f16 v30, v69, v65, v30
	;;#ASMEND
	;; [unrolled: 3-line block ×4, first 2 shown]
	s_waitcnt lgkmcnt(0)
	;;#ASMSTART
	v_dot2_f32_f16 v3, v68, v84, v3
	;;#ASMEND
	;;#ASMSTART
	v_dot2_f32_f16 v3, v69, v85, v3
	;;#ASMEND
	;; [unrolled: 3-line block ×28, first 2 shown]
	s_barrier
	global_load_dwordx4 v[64:67], v[26:27], off offset:768
	global_load_dwordx4 v[68:71], v[28:29], off offset:768
	s_waitcnt vmcnt(1)
	ds_write_b128 v25, v[64:67]
	s_waitcnt vmcnt(0)
	ds_write_b128 v34, v[68:71]
	s_waitcnt lgkmcnt(0)
	s_barrier
	ds_read_b128 v[64:67], v36 offset:768
	ds_read_b128 v[68:71], v35
	ds_read_b128 v[72:75], v35 offset:4608
	ds_read_b128 v[76:79], v35 offset:9216
	;; [unrolled: 1-line block ×4, first 2 shown]
	s_waitcnt lgkmcnt(4)
	;;#ASMSTART
	v_dot2_f32_f16 v30, v68, v64, v30
	;;#ASMEND
	;;#ASMSTART
	v_dot2_f32_f16 v30, v69, v65, v30
	;;#ASMEND
	;; [unrolled: 3-line block ×4, first 2 shown]
	s_waitcnt lgkmcnt(0)
	;;#ASMSTART
	v_dot2_f32_f16 v3, v68, v84, v3
	;;#ASMEND
	;;#ASMSTART
	v_dot2_f32_f16 v3, v69, v85, v3
	;;#ASMEND
	;; [unrolled: 3-line block ×28, first 2 shown]
	ds_read_b128 v[64:67], v36 offset:784
	ds_read_b128 v[68:71], v35 offset:16
	;; [unrolled: 1-line block ×6, first 2 shown]
	s_waitcnt lgkmcnt(4)
	;;#ASMSTART
	v_dot2_f32_f16 v30, v68, v64, v30
	;;#ASMEND
	;;#ASMSTART
	v_dot2_f32_f16 v30, v69, v65, v30
	;;#ASMEND
	;; [unrolled: 3-line block ×4, first 2 shown]
	s_waitcnt lgkmcnt(0)
	;;#ASMSTART
	v_dot2_f32_f16 v3, v68, v84, v3
	;;#ASMEND
	;;#ASMSTART
	v_dot2_f32_f16 v3, v69, v85, v3
	;;#ASMEND
	;; [unrolled: 3-line block ×28, first 2 shown]
	ds_read_b128 v[64:67], v36 offset:800
	ds_read_b128 v[68:71], v35 offset:32
	;; [unrolled: 1-line block ×6, first 2 shown]
	s_waitcnt lgkmcnt(4)
	;;#ASMSTART
	v_dot2_f32_f16 v30, v68, v64, v30
	;;#ASMEND
	;;#ASMSTART
	v_dot2_f32_f16 v30, v69, v65, v30
	;;#ASMEND
	;; [unrolled: 3-line block ×4, first 2 shown]
	s_waitcnt lgkmcnt(0)
	;;#ASMSTART
	v_dot2_f32_f16 v3, v68, v84, v3
	;;#ASMEND
	;;#ASMSTART
	v_dot2_f32_f16 v3, v69, v85, v3
	;;#ASMEND
	;; [unrolled: 3-line block ×28, first 2 shown]
	ds_read_b128 v[64:67], v36 offset:816
	ds_read_b128 v[68:71], v35 offset:48
	;; [unrolled: 1-line block ×6, first 2 shown]
	s_waitcnt lgkmcnt(4)
	;;#ASMSTART
	v_dot2_f32_f16 v30, v68, v64, v30
	;;#ASMEND
	;;#ASMSTART
	v_dot2_f32_f16 v30, v69, v65, v30
	;;#ASMEND
	;; [unrolled: 3-line block ×4, first 2 shown]
	s_waitcnt lgkmcnt(0)
	;;#ASMSTART
	v_dot2_f32_f16 v3, v68, v84, v3
	;;#ASMEND
	;;#ASMSTART
	v_dot2_f32_f16 v3, v69, v85, v3
	;;#ASMEND
	;; [unrolled: 3-line block ×28, first 2 shown]
	ds_read_b128 v[64:67], v36 offset:832
	ds_read_b128 v[68:71], v35 offset:64
	;; [unrolled: 1-line block ×6, first 2 shown]
	s_waitcnt lgkmcnt(4)
	;;#ASMSTART
	v_dot2_f32_f16 v30, v68, v64, v30
	;;#ASMEND
	;;#ASMSTART
	v_dot2_f32_f16 v30, v69, v65, v30
	;;#ASMEND
	;; [unrolled: 3-line block ×4, first 2 shown]
	s_waitcnt lgkmcnt(0)
	;;#ASMSTART
	v_dot2_f32_f16 v3, v68, v84, v3
	;;#ASMEND
	;;#ASMSTART
	v_dot2_f32_f16 v3, v69, v85, v3
	;;#ASMEND
	;; [unrolled: 3-line block ×28, first 2 shown]
	ds_read_b128 v[64:67], v36 offset:848
	ds_read_b128 v[68:71], v35 offset:80
	;; [unrolled: 1-line block ×6, first 2 shown]
	s_waitcnt lgkmcnt(4)
	;;#ASMSTART
	v_dot2_f32_f16 v30, v68, v64, v30
	;;#ASMEND
	;;#ASMSTART
	v_dot2_f32_f16 v30, v69, v65, v30
	;;#ASMEND
	;; [unrolled: 3-line block ×4, first 2 shown]
	s_waitcnt lgkmcnt(0)
	;;#ASMSTART
	v_dot2_f32_f16 v3, v68, v84, v3
	;;#ASMEND
	;;#ASMSTART
	v_dot2_f32_f16 v3, v69, v85, v3
	;;#ASMEND
	;; [unrolled: 3-line block ×28, first 2 shown]
	ds_read_b128 v[64:67], v36 offset:864
	ds_read_b128 v[68:71], v35 offset:96
	;; [unrolled: 1-line block ×6, first 2 shown]
	s_waitcnt lgkmcnt(4)
	;;#ASMSTART
	v_dot2_f32_f16 v30, v68, v64, v30
	;;#ASMEND
	;;#ASMSTART
	v_dot2_f32_f16 v30, v69, v65, v30
	;;#ASMEND
	;; [unrolled: 3-line block ×4, first 2 shown]
	s_waitcnt lgkmcnt(0)
	;;#ASMSTART
	v_dot2_f32_f16 v3, v68, v84, v3
	;;#ASMEND
	;;#ASMSTART
	v_dot2_f32_f16 v3, v69, v85, v3
	;;#ASMEND
	;; [unrolled: 3-line block ×28, first 2 shown]
	ds_read_b128 v[64:67], v36 offset:880
	ds_read_b128 v[68:71], v35 offset:112
	;; [unrolled: 1-line block ×6, first 2 shown]
	s_waitcnt lgkmcnt(4)
	;;#ASMSTART
	v_dot2_f32_f16 v30, v68, v64, v30
	;;#ASMEND
	;;#ASMSTART
	v_dot2_f32_f16 v30, v69, v65, v30
	;;#ASMEND
	;;#ASMSTART
	v_dot2_f32_f16 v30, v70, v66, v30
	;;#ASMEND
	;;#ASMSTART
	v_dot2_f32_f16 v30, v71, v67, v30
	;;#ASMEND
	s_waitcnt lgkmcnt(0)
	;;#ASMSTART
	v_dot2_f32_f16 v3, v68, v84, v3
	;;#ASMEND
	;;#ASMSTART
	v_dot2_f32_f16 v3, v69, v85, v3
	;;#ASMEND
	;; [unrolled: 3-line block ×28, first 2 shown]
	s_barrier
	global_load_dwordx4 v[64:67], v[26:27], off offset:896
	global_load_dwordx4 v[68:71], v[28:29], off offset:896
	s_waitcnt vmcnt(1)
	ds_write_b128 v25, v[64:67]
	s_waitcnt vmcnt(0)
	ds_write_b128 v34, v[68:71]
	s_waitcnt lgkmcnt(0)
	s_barrier
	ds_read_b128 v[26:29], v36 offset:896
	ds_read_b128 v[64:67], v35
	ds_read_b128 v[68:71], v35 offset:4608
	ds_read_b128 v[72:75], v35 offset:9216
	;; [unrolled: 1-line block ×4, first 2 shown]
	s_waitcnt lgkmcnt(4)
	;;#ASMSTART
	v_dot2_f32_f16 v30, v64, v26, v30
	;;#ASMEND
	;;#ASMSTART
	v_dot2_f32_f16 v30, v65, v27, v30
	;;#ASMEND
	;; [unrolled: 3-line block ×4, first 2 shown]
	s_waitcnt lgkmcnt(0)
	;;#ASMSTART
	v_dot2_f32_f16 v3, v64, v80, v3
	;;#ASMEND
	;;#ASMSTART
	v_dot2_f32_f16 v3, v65, v81, v3
	;;#ASMEND
	;; [unrolled: 3-line block ×28, first 2 shown]
	ds_read_b128 v[26:29], v36 offset:912
	ds_read_b128 v[64:67], v35 offset:16
	;; [unrolled: 1-line block ×6, first 2 shown]
	s_waitcnt lgkmcnt(4)
	;;#ASMSTART
	v_dot2_f32_f16 v30, v64, v26, v30
	;;#ASMEND
	;;#ASMSTART
	v_dot2_f32_f16 v30, v65, v27, v30
	;;#ASMEND
	;; [unrolled: 3-line block ×4, first 2 shown]
	s_waitcnt lgkmcnt(0)
	;;#ASMSTART
	v_dot2_f32_f16 v3, v64, v80, v3
	;;#ASMEND
	;;#ASMSTART
	v_dot2_f32_f16 v3, v65, v81, v3
	;;#ASMEND
	;; [unrolled: 3-line block ×28, first 2 shown]
	ds_read_b128 v[26:29], v36 offset:928
	ds_read_b128 v[64:67], v35 offset:32
	;; [unrolled: 1-line block ×6, first 2 shown]
	s_waitcnt lgkmcnt(4)
	;;#ASMSTART
	v_dot2_f32_f16 v30, v64, v26, v30
	;;#ASMEND
	;;#ASMSTART
	v_dot2_f32_f16 v30, v65, v27, v30
	;;#ASMEND
	;;#ASMSTART
	v_dot2_f32_f16 v30, v66, v28, v30
	;;#ASMEND
	;;#ASMSTART
	v_dot2_f32_f16 v30, v67, v29, v30
	;;#ASMEND
	s_waitcnt lgkmcnt(0)
	;;#ASMSTART
	v_dot2_f32_f16 v3, v64, v80, v3
	;;#ASMEND
	;;#ASMSTART
	v_dot2_f32_f16 v3, v65, v81, v3
	;;#ASMEND
	;; [unrolled: 3-line block ×28, first 2 shown]
	ds_read_b128 v[26:29], v36 offset:944
	ds_read_b128 v[64:67], v35 offset:48
	;; [unrolled: 1-line block ×6, first 2 shown]
	s_waitcnt lgkmcnt(4)
	;;#ASMSTART
	v_dot2_f32_f16 v30, v64, v26, v30
	;;#ASMEND
	;;#ASMSTART
	v_dot2_f32_f16 v30, v65, v27, v30
	;;#ASMEND
	;; [unrolled: 3-line block ×4, first 2 shown]
	s_waitcnt lgkmcnt(0)
	;;#ASMSTART
	v_dot2_f32_f16 v3, v64, v80, v3
	;;#ASMEND
	;;#ASMSTART
	v_dot2_f32_f16 v3, v65, v81, v3
	;;#ASMEND
	;; [unrolled: 3-line block ×28, first 2 shown]
	ds_read_b128 v[26:29], v36 offset:960
	ds_read_b128 v[64:67], v35 offset:64
	;; [unrolled: 1-line block ×6, first 2 shown]
	s_waitcnt lgkmcnt(4)
	;;#ASMSTART
	v_dot2_f32_f16 v30, v64, v26, v30
	;;#ASMEND
	;;#ASMSTART
	v_dot2_f32_f16 v30, v65, v27, v30
	;;#ASMEND
	;; [unrolled: 3-line block ×4, first 2 shown]
	s_waitcnt lgkmcnt(0)
	;;#ASMSTART
	v_dot2_f32_f16 v3, v64, v80, v3
	;;#ASMEND
	;;#ASMSTART
	v_dot2_f32_f16 v3, v65, v81, v3
	;;#ASMEND
	;; [unrolled: 3-line block ×28, first 2 shown]
	ds_read_b128 v[26:29], v36 offset:976
	ds_read_b128 v[64:67], v35 offset:80
	;; [unrolled: 1-line block ×6, first 2 shown]
	s_waitcnt lgkmcnt(4)
	;;#ASMSTART
	v_dot2_f32_f16 v30, v64, v26, v30
	;;#ASMEND
	;;#ASMSTART
	v_dot2_f32_f16 v30, v65, v27, v30
	;;#ASMEND
	;;#ASMSTART
	v_dot2_f32_f16 v30, v66, v28, v30
	;;#ASMEND
	;;#ASMSTART
	v_dot2_f32_f16 v30, v67, v29, v30
	;;#ASMEND
	s_waitcnt lgkmcnt(0)
	;;#ASMSTART
	v_dot2_f32_f16 v3, v64, v80, v3
	;;#ASMEND
	;;#ASMSTART
	v_dot2_f32_f16 v3, v65, v81, v3
	;;#ASMEND
	;; [unrolled: 3-line block ×28, first 2 shown]
	ds_read_b128 v[26:29], v36 offset:992
	ds_read_b128 v[64:67], v35 offset:96
	ds_read_b128 v[68:71], v42 offset:4608
	ds_read_b128 v[72:75], v42 offset:9216
	ds_read_b128 v[76:79], v42 offset:13824
	ds_read_b128 v[80:83], v36 offset:2016
	s_waitcnt lgkmcnt(4)
	;;#ASMSTART
	v_dot2_f32_f16 v30, v64, v26, v30
	;;#ASMEND
	;;#ASMSTART
	v_dot2_f32_f16 v30, v65, v27, v30
	;;#ASMEND
	;;#ASMSTART
	v_dot2_f32_f16 v30, v66, v28, v30
	;;#ASMEND
	;;#ASMSTART
	v_dot2_f32_f16 v30, v67, v29, v30
	;;#ASMEND
	s_waitcnt lgkmcnt(0)
	;;#ASMSTART
	v_dot2_f32_f16 v3, v64, v80, v3
	;;#ASMEND
	;;#ASMSTART
	v_dot2_f32_f16 v3, v65, v81, v3
	;;#ASMEND
	;; [unrolled: 3-line block ×28, first 2 shown]
	ds_read_b128 v[26:29], v36 offset:1008
	ds_read_b128 v[64:67], v35 offset:112
	;; [unrolled: 1-line block ×6, first 2 shown]
	s_waitcnt lgkmcnt(4)
	;;#ASMSTART
	v_dot2_f32_f16 v30, v64, v26, v30
	;;#ASMEND
	;;#ASMSTART
	v_dot2_f32_f16 v30, v65, v27, v30
	;;#ASMEND
	;; [unrolled: 3-line block ×4, first 2 shown]
	s_waitcnt lgkmcnt(0)
	;;#ASMSTART
	v_dot2_f32_f16 v3, v64, v80, v3
	;;#ASMEND
	;;#ASMSTART
	v_dot2_f32_f16 v3, v65, v81, v3
	;;#ASMEND
	;; [unrolled: 3-line block ×27, first 2 shown]
	v_cmp_nlt_f32_e64 s[10:11], |v30|, s12
	;;#ASMSTART
	v_dot2_f32_f16 v61, v79, v83, v61
	;;#ASMEND
                                        ; implicit-def: $vgpr28
	s_and_saveexec_b64 s[34:35], s[10:11]
	s_xor_b64 s[10:11], exec, s[34:35]
	s_cbranch_execz .LBB26_12
; %bb.11:                               ;   in Loop: Header=BB26_10 Depth=1
	v_add_f32_e64 v26, |v30|, |v30|
	v_mul_f32_e32 v27, 0x3fb8aa3b, v26
	v_rndne_f32_e32 v28, v27
	v_sub_f32_e32 v29, v27, v28
	v_fma_f32 v27, v26, s13, -v27
	v_fmac_f32_e32 v27, 0x32a5705f, v26
	v_add_f32_e32 v27, v29, v27
	v_cvt_i32_f32_e32 v28, v28
	v_exp_f32_e32 v27, v27
	v_cmp_ngt_f32_e32 vcc, s24, v26
	v_ldexp_f32 v27, v27, v28
	v_cndmask_b32_e32 v27, 0, v27, vcc
	v_cmp_nlt_f32_e32 vcc, s25, v26
	v_cndmask_b32_e32 v26, v54, v27, vcc
	v_add_f32_e32 v26, 1.0, v26
	v_rcp_f32_e32 v26, v26
	v_fma_f32 v28, v26, -2.0, 1.0
.LBB26_12:                              ;   in Loop: Header=BB26_10 Depth=1
	s_andn2_saveexec_b64 s[10:11], s[10:11]
; %bb.13:                               ;   in Loop: Header=BB26_10 Depth=1
	v_mul_f32_e32 v26, v30, v30
	v_mov_b32_e32 v27, 0x3ca908c9
	v_fmac_f32_e32 v27, 0xbbbac73d, v26
	v_fma_f32 v27, v26, v27, v51
	v_fma_f32 v27, v26, v27, v52
	;; [unrolled: 1-line block ×3, first 2 shown]
	v_mul_f32_e64 v27, |v30|, v27
	v_fma_f32 v28, v26, v27, |v30|
; %bb.14:                               ;   in Loop: Header=BB26_10 Depth=1
	s_or_b64 exec, exec, s[10:11]
	v_add_u32_e32 v26, s6, v14
	v_ashrrev_i32_e32 v27, 31, v26
	v_lshlrev_b64 v[26:27], 1, v[26:27]
	v_mov_b32_e32 v29, s31
	v_add_co_u32_e32 v26, vcc, s30, v26
	v_addc_co_u32_e32 v27, vcc, v29, v27, vcc
	flat_load_ushort v29, v[26:27]
	v_cmp_nlt_f32_e64 s[10:11], |v31|, s12
                                        ; implicit-def: $vgpr64
	s_and_saveexec_b64 s[34:35], s[10:11]
	s_xor_b64 s[10:11], exec, s[34:35]
	s_cbranch_execz .LBB26_16
; %bb.15:                               ;   in Loop: Header=BB26_10 Depth=1
	v_add_f32_e64 v64, |v31|, |v31|
	v_mul_f32_e32 v65, 0x3fb8aa3b, v64
	v_rndne_f32_e32 v66, v65
	v_sub_f32_e32 v67, v65, v66
	v_fma_f32 v65, v64, s13, -v65
	v_fmac_f32_e32 v65, 0x32a5705f, v64
	v_add_f32_e32 v65, v67, v65
	v_cvt_i32_f32_e32 v66, v66
	v_exp_f32_e32 v65, v65
	v_cmp_ngt_f32_e32 vcc, s24, v64
	v_ldexp_f32 v65, v65, v66
	v_cndmask_b32_e32 v65, 0, v65, vcc
	v_cmp_nlt_f32_e32 vcc, s25, v64
	v_cndmask_b32_e32 v64, v54, v65, vcc
	v_add_f32_e32 v64, 1.0, v64
	v_rcp_f32_e32 v64, v64
	v_fma_f32 v64, v64, -2.0, 1.0
.LBB26_16:                              ;   in Loop: Header=BB26_10 Depth=1
	s_andn2_saveexec_b64 s[10:11], s[10:11]
; %bb.17:                               ;   in Loop: Header=BB26_10 Depth=1
	v_mul_f32_e32 v64, v31, v31
	v_mov_b32_e32 v65, 0x3ca908c9
	v_fmac_f32_e32 v65, 0xbbbac73d, v64
	v_fma_f32 v65, v64, v65, v51
	v_fma_f32 v65, v64, v65, v52
	;; [unrolled: 1-line block ×3, first 2 shown]
	v_mul_f32_e64 v65, |v31|, v65
	v_fma_f32 v64, v64, v65, |v31|
; %bb.18:                               ;   in Loop: Header=BB26_10 Depth=1
	s_or_b64 exec, exec, s[10:11]
	flat_load_ushort v68, v[26:27] offset:64
	v_cmp_nlt_f32_e64 s[10:11], |v62|, s12
                                        ; implicit-def: $vgpr65
	s_and_saveexec_b64 s[34:35], s[10:11]
	s_xor_b64 s[10:11], exec, s[34:35]
	s_cbranch_execz .LBB26_20
; %bb.19:                               ;   in Loop: Header=BB26_10 Depth=1
	v_add_f32_e64 v65, |v62|, |v62|
	v_mul_f32_e32 v66, 0x3fb8aa3b, v65
	v_rndne_f32_e32 v67, v66
	v_sub_f32_e32 v69, v66, v67
	v_fma_f32 v66, v65, s13, -v66
	v_fmac_f32_e32 v66, 0x32a5705f, v65
	v_add_f32_e32 v66, v69, v66
	v_cvt_i32_f32_e32 v67, v67
	v_exp_f32_e32 v66, v66
	v_cmp_ngt_f32_e32 vcc, s24, v65
	v_ldexp_f32 v66, v66, v67
	v_cndmask_b32_e32 v66, 0, v66, vcc
	v_cmp_nlt_f32_e32 vcc, s25, v65
	v_cndmask_b32_e32 v65, v54, v66, vcc
	v_add_f32_e32 v65, 1.0, v65
	v_rcp_f32_e32 v65, v65
	v_fma_f32 v65, v65, -2.0, 1.0
.LBB26_20:                              ;   in Loop: Header=BB26_10 Depth=1
	s_andn2_saveexec_b64 s[10:11], s[10:11]
; %bb.21:                               ;   in Loop: Header=BB26_10 Depth=1
	v_mul_f32_e32 v65, v62, v62
	v_mov_b32_e32 v66, 0x3ca908c9
	v_fmac_f32_e32 v66, 0xbbbac73d, v65
	v_fma_f32 v66, v65, v66, v51
	v_fma_f32 v66, v65, v66, v52
	;; [unrolled: 1-line block ×3, first 2 shown]
	v_mul_f32_e64 v66, |v62|, v66
	v_fma_f32 v65, v65, v66, |v62|
; %bb.22:                               ;   in Loop: Header=BB26_10 Depth=1
	s_or_b64 exec, exec, s[10:11]
	flat_load_ushort v69, v[26:27] offset:128
	v_cmp_nlt_f32_e64 s[10:11], |v63|, s12
                                        ; implicit-def: $vgpr66
	s_and_saveexec_b64 s[34:35], s[10:11]
	s_xor_b64 s[10:11], exec, s[34:35]
	s_cbranch_execz .LBB26_24
; %bb.23:                               ;   in Loop: Header=BB26_10 Depth=1
	v_add_f32_e64 v66, |v63|, |v63|
	v_mul_f32_e32 v67, 0x3fb8aa3b, v66
	v_rndne_f32_e32 v70, v67
	v_sub_f32_e32 v71, v67, v70
	v_fma_f32 v67, v66, s13, -v67
	v_fmac_f32_e32 v67, 0x32a5705f, v66
	v_add_f32_e32 v67, v71, v67
	v_cvt_i32_f32_e32 v70, v70
	v_exp_f32_e32 v67, v67
	v_cmp_ngt_f32_e32 vcc, s24, v66
	v_ldexp_f32 v67, v67, v70
	v_cndmask_b32_e32 v67, 0, v67, vcc
	v_cmp_nlt_f32_e32 vcc, s25, v66
	v_cndmask_b32_e32 v66, v54, v67, vcc
	v_add_f32_e32 v66, 1.0, v66
	v_rcp_f32_e32 v66, v66
	v_fma_f32 v66, v66, -2.0, 1.0
.LBB26_24:                              ;   in Loop: Header=BB26_10 Depth=1
	s_andn2_saveexec_b64 s[10:11], s[10:11]
; %bb.25:                               ;   in Loop: Header=BB26_10 Depth=1
	v_mul_f32_e32 v66, v63, v63
	v_mov_b32_e32 v67, 0x3ca908c9
	v_fmac_f32_e32 v67, 0xbbbac73d, v66
	v_fma_f32 v67, v66, v67, v51
	v_fma_f32 v67, v66, v67, v52
	v_fma_f32 v67, v66, v67, v53
	v_mul_f32_e64 v67, |v63|, v67
	v_fma_f32 v66, v66, v67, |v63|
; %bb.26:                               ;   in Loop: Header=BB26_10 Depth=1
	s_or_b64 exec, exec, s[10:11]
	flat_load_ushort v27, v[26:27] offset:192
	v_bfi_b32 v26, s26, v28, v30
	v_bfi_b32 v28, s26, v64, v31
	s_waitcnt vmcnt(0) lgkmcnt(0)
	v_fma_mix_f32 v30, v26, s0, v29 op_sel_hi:[0,0,1]
	v_fma_mix_f32 v31, v28, s0, v68 op_sel_hi:[0,0,1]
	v_add_f32_e32 v26, 0x40051340, v30
	v_add_f32_e32 v28, 0x40051340, v31
	v_max3_f32 v64, v10, v26, v28
	v_bfi_b32 v26, s26, v65, v62
	v_fma_mix_f32 v28, v26, s0, v69 op_sel_hi:[0,0,1]
	v_and_b32_e32 v26, 0x60, v15
	v_add_u32_e32 v62, 32, v26
	v_xor_b32_e32 v67, 16, v15
	v_cmp_lt_i32_e32 vcc, v67, v62
	v_cndmask_b32_e32 v26, v15, v67, vcc
	v_lshlrev_b32_e32 v70, 2, v26
	v_bfi_b32 v26, s26, v66, v63
	v_add_f32_e32 v65, 0x40051340, v28
	v_cmp_nlt_f32_e64 s[10:11], |v3|, s12
                                        ; implicit-def: $vgpr77
	v_fma_mix_f32 v26, v26, s0, v27 op_sel_hi:[0,0,1]
	v_add_f32_e32 v63, 0x40051340, v26
	v_max3_f32 v64, v64, v65, v63
	ds_bpermute_b32 v65, v70, v64
	v_xor_b32_e32 v63, 8, v15
	v_cmp_lt_i32_e32 vcc, v63, v62
	v_cndmask_b32_e32 v66, v15, v63, vcc
	v_lshlrev_b32_e32 v71, 2, v66
	s_waitcnt lgkmcnt(0)
	v_max_f32_e32 v65, v65, v65
	v_max_f32_e32 v65, v64, v65
	ds_bpermute_b32 v66, v71, v65
	v_xor_b32_e32 v64, 4, v15
	v_cmp_lt_i32_e32 vcc, v64, v62
	v_cndmask_b32_e32 v72, v15, v64, vcc
	v_lshlrev_b32_e32 v72, 2, v72
	s_waitcnt lgkmcnt(0)
	v_max_f32_e32 v66, v66, v66
	v_max_f32_e32 v66, v65, v66
	;; [unrolled: 8-line block ×4, first 2 shown]
	ds_bpermute_b32 v74, v76, v73
	s_and_saveexec_b64 s[34:35], s[10:11]
	s_xor_b64 s[10:11], exec, s[34:35]
	s_cbranch_execz .LBB26_28
; %bb.27:                               ;   in Loop: Header=BB26_10 Depth=1
	v_add_f32_e64 v77, |v3|, |v3|
	v_mul_f32_e32 v78, 0x3fb8aa3b, v77
	v_rndne_f32_e32 v79, v78
	v_sub_f32_e32 v80, v78, v79
	v_fma_f32 v78, v77, s13, -v78
	v_fmac_f32_e32 v78, 0x32a5705f, v77
	v_add_f32_e32 v78, v80, v78
	v_cvt_i32_f32_e32 v79, v79
	v_exp_f32_e32 v78, v78
	v_cmp_ngt_f32_e32 vcc, s24, v77
	v_ldexp_f32 v78, v78, v79
	v_cndmask_b32_e32 v78, 0, v78, vcc
	v_cmp_nlt_f32_e32 vcc, s25, v77
	v_cndmask_b32_e32 v77, v54, v78, vcc
	v_add_f32_e32 v77, 1.0, v77
	v_rcp_f32_e32 v77, v77
	v_fma_f32 v77, v77, -2.0, 1.0
.LBB26_28:                              ;   in Loop: Header=BB26_10 Depth=1
	s_andn2_saveexec_b64 s[10:11], s[10:11]
; %bb.29:                               ;   in Loop: Header=BB26_10 Depth=1
	v_mul_f32_e32 v77, v3, v3
	v_mov_b32_e32 v78, 0x3ca908c9
	v_fmac_f32_e32 v78, 0xbbbac73d, v77
	v_fma_f32 v78, v77, v78, v51
	v_fma_f32 v78, v77, v78, v52
	;; [unrolled: 1-line block ×3, first 2 shown]
	v_mul_f32_e64 v78, |v3|, v78
	v_fma_f32 v77, v77, v78, |v3|
; %bb.30:                               ;   in Loop: Header=BB26_10 Depth=1
	s_or_b64 exec, exec, s[10:11]
	v_cmp_nlt_f32_e64 s[10:11], |v32|, s12
                                        ; implicit-def: $vgpr78
	s_and_saveexec_b64 s[34:35], s[10:11]
	s_xor_b64 s[10:11], exec, s[34:35]
	s_cbranch_execz .LBB26_32
; %bb.31:                               ;   in Loop: Header=BB26_10 Depth=1
	v_add_f32_e64 v78, |v32|, |v32|
	v_mul_f32_e32 v79, 0x3fb8aa3b, v78
	v_rndne_f32_e32 v80, v79
	v_sub_f32_e32 v81, v79, v80
	v_fma_f32 v79, v78, s13, -v79
	v_fmac_f32_e32 v79, 0x32a5705f, v78
	v_add_f32_e32 v79, v81, v79
	v_cvt_i32_f32_e32 v80, v80
	v_exp_f32_e32 v79, v79
	v_cmp_ngt_f32_e32 vcc, s24, v78
	v_ldexp_f32 v79, v79, v80
	v_cndmask_b32_e32 v79, 0, v79, vcc
	v_cmp_nlt_f32_e32 vcc, s25, v78
	v_cndmask_b32_e32 v78, v54, v79, vcc
	v_add_f32_e32 v78, 1.0, v78
	v_rcp_f32_e32 v78, v78
	v_fma_f32 v78, v78, -2.0, 1.0
.LBB26_32:                              ;   in Loop: Header=BB26_10 Depth=1
	s_andn2_saveexec_b64 s[10:11], s[10:11]
; %bb.33:                               ;   in Loop: Header=BB26_10 Depth=1
	v_mul_f32_e32 v78, v32, v32
	v_mov_b32_e32 v79, 0x3ca908c9
	v_fmac_f32_e32 v79, 0xbbbac73d, v78
	v_fma_f32 v79, v78, v79, v51
	v_fma_f32 v79, v78, v79, v52
	;; [unrolled: 1-line block ×3, first 2 shown]
	v_mul_f32_e64 v79, |v32|, v79
	v_fma_f32 v78, v78, v79, |v32|
; %bb.34:                               ;   in Loop: Header=BB26_10 Depth=1
	s_or_b64 exec, exec, s[10:11]
	v_cmp_nlt_f32_e64 s[10:11], |v33|, s12
                                        ; implicit-def: $vgpr79
	s_and_saveexec_b64 s[34:35], s[10:11]
	s_xor_b64 s[10:11], exec, s[34:35]
	s_cbranch_execz .LBB26_36
; %bb.35:                               ;   in Loop: Header=BB26_10 Depth=1
	v_add_f32_e64 v79, |v33|, |v33|
	v_mul_f32_e32 v80, 0x3fb8aa3b, v79
	v_rndne_f32_e32 v81, v80
	v_sub_f32_e32 v82, v80, v81
	v_fma_f32 v80, v79, s13, -v80
	v_fmac_f32_e32 v80, 0x32a5705f, v79
	v_add_f32_e32 v80, v82, v80
	v_cvt_i32_f32_e32 v81, v81
	v_exp_f32_e32 v80, v80
	v_cmp_ngt_f32_e32 vcc, s24, v79
	v_ldexp_f32 v80, v80, v81
	v_cndmask_b32_e32 v80, 0, v80, vcc
	v_cmp_nlt_f32_e32 vcc, s25, v79
	v_cndmask_b32_e32 v79, v54, v80, vcc
	v_add_f32_e32 v79, 1.0, v79
	v_rcp_f32_e32 v79, v79
	v_fma_f32 v79, v79, -2.0, 1.0
.LBB26_36:                              ;   in Loop: Header=BB26_10 Depth=1
	s_andn2_saveexec_b64 s[10:11], s[10:11]
; %bb.37:                               ;   in Loop: Header=BB26_10 Depth=1
	v_mul_f32_e32 v79, v33, v33
	v_mov_b32_e32 v80, 0x3ca908c9
	v_fmac_f32_e32 v80, 0xbbbac73d, v79
	v_fma_f32 v80, v79, v80, v51
	v_fma_f32 v80, v79, v80, v52
	;; [unrolled: 1-line block ×3, first 2 shown]
	v_mul_f32_e64 v80, |v33|, v80
	v_fma_f32 v79, v79, v80, |v33|
; %bb.38:                               ;   in Loop: Header=BB26_10 Depth=1
	s_or_b64 exec, exec, s[10:11]
	v_cmp_nlt_f32_e64 s[10:11], |v61|, s12
                                        ; implicit-def: $vgpr80
	s_and_saveexec_b64 s[34:35], s[10:11]
	s_xor_b64 s[10:11], exec, s[34:35]
	s_cbranch_execz .LBB26_40
; %bb.39:                               ;   in Loop: Header=BB26_10 Depth=1
	v_add_f32_e64 v80, |v61|, |v61|
	v_mul_f32_e32 v81, 0x3fb8aa3b, v80
	v_rndne_f32_e32 v82, v81
	v_sub_f32_e32 v83, v81, v82
	v_fma_f32 v81, v80, s13, -v81
	v_fmac_f32_e32 v81, 0x32a5705f, v80
	v_add_f32_e32 v81, v83, v81
	v_cvt_i32_f32_e32 v82, v82
	v_exp_f32_e32 v81, v81
	v_cmp_ngt_f32_e32 vcc, s24, v80
	v_ldexp_f32 v81, v81, v82
	v_cndmask_b32_e32 v81, 0, v81, vcc
	v_cmp_nlt_f32_e32 vcc, s25, v80
	v_cndmask_b32_e32 v80, v54, v81, vcc
	v_add_f32_e32 v80, 1.0, v80
	v_rcp_f32_e32 v80, v80
	v_fma_f32 v80, v80, -2.0, 1.0
.LBB26_40:                              ;   in Loop: Header=BB26_10 Depth=1
	s_andn2_saveexec_b64 s[10:11], s[10:11]
	s_cbranch_execz .LBB26_9
; %bb.41:                               ;   in Loop: Header=BB26_10 Depth=1
	v_mul_f32_e32 v80, v61, v61
	v_mov_b32_e32 v81, 0x3ca908c9
	v_fmac_f32_e32 v81, 0xbbbac73d, v80
	v_fma_f32 v81, v80, v81, v51
	v_fma_f32 v81, v80, v81, v52
	;; [unrolled: 1-line block ×3, first 2 shown]
	v_mul_f32_e64 v81, |v61|, v81
	v_fma_f32 v80, v80, v81, |v61|
	s_branch .LBB26_9
.LBB26_42:
	v_cmp_lt_i32_e32 vcc, v67, v62
	v_cndmask_b32_e32 v3, v15, v67, vcc
	v_lshlrev_b32_e32 v3, 2, v3
	ds_bpermute_b32 v16, v3, v12
	ds_bpermute_b32 v17, v3, v13
	v_cmp_lt_i32_e32 vcc, v63, v62
	v_cndmask_b32_e32 v3, v15, v63, vcc
	v_lshlrev_b32_e32 v3, 2, v3
	v_cmp_lt_i32_e32 vcc, v64, v62
	s_waitcnt lgkmcnt(0)
	v_pk_add_f32 v[12:13], v[12:13], v[16:17]
	ds_bpermute_b32 v16, v3, v12
	ds_bpermute_b32 v17, v3, v13
	v_cndmask_b32_e32 v3, v15, v64, vcc
	v_lshlrev_b32_e32 v3, 2, v3
	v_cmp_lt_i32_e32 vcc, v65, v62
	s_cmp_lg_u64 s[16:17], 0
	s_waitcnt lgkmcnt(0)
	v_pk_add_f32 v[12:13], v[12:13], v[16:17]
	ds_bpermute_b32 v16, v3, v12
	ds_bpermute_b32 v17, v3, v13
	v_cndmask_b32_e32 v3, v15, v65, vcc
	v_lshlrev_b32_e32 v3, 2, v3
	v_cmp_lt_i32_e32 vcc, v66, v62
	s_cselect_b64 s[0:1], -1, 0
	s_waitcnt lgkmcnt(0)
	v_pk_add_f32 v[12:13], v[12:13], v[16:17]
	ds_bpermute_b32 v16, v3, v12
	ds_bpermute_b32 v17, v3, v13
	v_cndmask_b32_e32 v3, v15, v66, vcc
	v_lshlrev_b32_e32 v3, 2, v3
	s_cmp_eq_u32 s7, 0
	s_cselect_b64 s[8:9], -1, 0
	s_waitcnt lgkmcnt(0)
	v_pk_add_f32 v[12:13], v[12:13], v[16:17]
	ds_bpermute_b32 v14, v3, v12
	ds_bpermute_b32 v15, v3, v13
	s_and_b64 s[0:1], s[8:9], s[0:1]
	s_and_b64 vcc, exec, s[0:1]
	s_waitcnt lgkmcnt(0)
	v_pk_add_f32 v[12:13], v[12:13], v[14:15]
	s_cbranch_vccz .LBB26_44
; %bb.43:
	v_add_u32_e32 v14, s29, v21
	v_ashrrev_i32_e32 v15, 31, v14
	v_lshlrev_b64 v[14:15], 2, v[14:15]
	v_mov_b32_e32 v3, s17
	v_add_co_u32_e32 v14, vcc, s16, v14
	v_addc_co_u32_e32 v15, vcc, v3, v15, vcc
	global_load_dwordx2 v[14:15], v[14:15], off
	v_max_f32_e32 v3, v11, v11
	v_max_f32_e32 v16, v10, v10
	s_mov_b32 s0, 0x3fb8aa3b
	s_mov_b32 s1, 0xc2ce8ed0
	;; [unrolled: 1-line block ×3, first 2 shown]
	v_mov_b32_e32 v18, 0x7f800000
	s_waitcnt vmcnt(0)
	v_max_f32_e32 v17, v15, v15
	v_max_f32_e32 v19, v14, v14
	;; [unrolled: 1-line block ×4, first 2 shown]
	v_pk_add_f32 v[10:11], v[10:11], v[16:17] neg_lo:[0,1] neg_hi:[0,1]
	v_mul_f32_e32 v3, 0x3fb8aa3b, v11
	v_pk_add_f32 v[14:15], v[14:15], v[16:17] neg_lo:[0,1] neg_hi:[0,1]
	v_mul_f32_e32 v19, 0x3fb8aa3b, v10
	v_fma_f32 v27, v11, s0, -v3
	v_rndne_f32_e32 v28, v3
	v_mul_f32_e32 v25, 0x3fb8aa3b, v15
	v_fma_f32 v29, v10, s0, -v19
	v_rndne_f32_e32 v30, v19
	v_fmac_f32_e32 v27, 0x32a5705f, v11
	v_sub_f32_e32 v3, v3, v28
	v_mul_f32_e32 v26, 0x3fb8aa3b, v14
	v_fma_f32 v31, v15, s0, -v25
	v_rndne_f32_e32 v32, v25
	v_fmac_f32_e32 v29, 0x32a5705f, v10
	v_sub_f32_e32 v19, v19, v30
	v_add_f32_e32 v3, v3, v27
	v_fma_f32 v33, v14, s0, -v26
	v_rndne_f32_e32 v34, v26
	v_cvt_i32_f32_e32 v28, v28
	v_fmac_f32_e32 v31, 0x32a5705f, v15
	v_sub_f32_e32 v25, v25, v32
	v_add_f32_e32 v19, v19, v29
	v_exp_f32_e32 v3, v3
	v_cvt_i32_f32_e32 v30, v30
	v_fmac_f32_e32 v33, 0x32a5705f, v14
	v_sub_f32_e32 v26, v26, v34
	v_add_f32_e32 v25, v25, v31
	v_exp_f32_e32 v19, v19
	v_cvt_i32_f32_e32 v32, v32
	v_add_f32_e32 v26, v26, v33
	v_exp_f32_e32 v25, v25
	v_cvt_i32_f32_e32 v34, v34
	v_exp_f32_e32 v26, v26
	v_ldexp_f32 v3, v3, v28
	v_cmp_ngt_f32_e32 vcc, s1, v11
	v_ldexp_f32 v19, v19, v30
	v_cndmask_b32_e32 v3, 0, v3, vcc
	v_cmp_ngt_f32_e32 vcc, s1, v10
	v_ldexp_f32 v25, v25, v32
	v_cndmask_b32_e32 v19, 0, v19, vcc
	v_cmp_ngt_f32_e32 vcc, s1, v15
	v_ldexp_f32 v26, v26, v34
	v_cndmask_b32_e32 v25, 0, v25, vcc
	v_cmp_ngt_f32_e32 vcc, s1, v14
	v_cndmask_b32_e32 v26, 0, v26, vcc
	v_cmp_nlt_f32_e32 vcc, s6, v11
	v_cndmask_b32_e32 v11, v18, v3, vcc
	v_cmp_nlt_f32_e32 vcc, s6, v10
	;; [unrolled: 2-line block ×4, first 2 shown]
	v_cndmask_b32_e32 v14, v18, v26, vcc
	v_cvt_f16_f32_e32 v3, v10
	v_pk_fma_f32 v[12:13], v[12:13], v[10:11], v[14:15]
	v_cvt_f16_f32_e32 v10, v11
	v_pk_mul_f16 v59, v3, v59 op_sel_hi:[0,1]
	v_pk_mul_f16 v22, v3, v22 op_sel_hi:[0,1]
	;; [unrolled: 1-line block ×16, first 2 shown]
	v_pk_mov_b32 v[10:11], v[16:17], v[16:17] op_sel:[0,1]
.LBB26_44:
	v_cmp_gt_i32_e32 vcc, s2, v9
	s_and_saveexec_b64 s[0:1], vcc
	s_cbranch_execz .LBB26_53
; %bb.45:
	s_load_dword s6, s[4:5], 0xd4
	v_mov_b32_e32 v14, 1.0
	s_waitcnt lgkmcnt(0)
	s_cmp_lg_u32 s6, 1
	s_cselect_b64 s[0:1], -1, 0
	s_cmp_eq_u32 s6, 1
	s_cselect_b64 s[4:5], -1, 0
	s_and_b64 vcc, exec, s[0:1]
	s_cbranch_vccnz .LBB26_47
; %bb.46:
	v_div_scale_f32 v3, s[8:9], v12, v12, 1.0
	v_rcp_f32_e32 v14, v3
	v_div_scale_f32 v15, vcc, 1.0, v12, 1.0
	v_fma_f32 v16, -v3, v14, 1.0
	v_fmac_f32_e32 v14, v16, v14
	v_mul_f32_e32 v16, v15, v14
	v_fma_f32 v17, -v3, v16, v15
	v_fmac_f32_e32 v16, v17, v14
	v_fma_f32 v3, -v3, v16, v15
	v_div_fmas_f32 v3, v3, v14, v16
	v_div_fixup_f32 v14, v3, v12, 1.0
.LBB26_47:
	s_mul_i32 s33, s33, s2
	v_add_u32_e32 v3, s33, v9
	v_mul_lo_u32 v3, v3, s3
	v_add3_u32 v3, s29, v21, v3
	v_mul_lo_u32 v3, s6, v3
	v_cmp_eq_u32_e32 vcc, 0, v8
	v_add_u32_e32 v8, s7, v3
	v_cvt_f32_f16_sdwa v19, v59 dst_sel:DWORD dst_unused:UNUSED_PAD src0_sel:WORD_1
	v_cvt_f32_f16_e32 v18, v59
	v_cvt_f32_f16_sdwa v29, v22 dst_sel:DWORD dst_unused:UNUSED_PAD src0_sel:WORD_1
	v_cvt_f32_f16_e32 v28, v22
	v_lshl_add_u32 v26, v8, 9, v23
	v_mov_b32_e32 v27, 0
	v_lshlrev_b64 v[16:17], 2, v[26:27]
	s_and_b64 s[0:1], vcc, s[0:1]
	v_mov_b32_e32 v3, s21
	v_add_co_u32_e32 v30, vcc, s20, v16
	v_addc_co_u32_e32 v31, vcc, v3, v17, vcc
	v_pk_mul_f32 v[16:17], v[14:15], v[18:19] op_sel_hi:[0,1]
	v_pk_mul_f32 v[18:19], v[14:15], v[28:29] op_sel_hi:[0,1]
	global_store_dwordx4 v[30:31], v[16:19], off
	v_cvt_f32_f16_sdwa v25, v24 dst_sel:DWORD dst_unused:UNUSED_PAD src0_sel:WORD_1
	v_cvt_f32_f16_sdwa v19, v60 dst_sel:DWORD dst_unused:UNUSED_PAD src0_sel:WORD_1
	v_cvt_f32_f16_e32 v18, v60
	v_cvt_f32_f16_e32 v24, v24
	v_add_u32_e32 v16, 0x80, v26
	v_mov_b32_e32 v17, v27
	v_lshlrev_b64 v[16:17], 2, v[16:17]
	v_add_co_u32_e32 v28, vcc, s20, v16
	v_addc_co_u32_e32 v29, vcc, v3, v17, vcc
	v_pk_mul_f32 v[16:17], v[14:15], v[18:19] op_sel_hi:[0,1]
	v_pk_mul_f32 v[18:19], v[14:15], v[24:25] op_sel_hi:[0,1]
	global_store_dwordx4 v[28:29], v[16:19], off
	v_cvt_f32_f16_sdwa v21, v20 dst_sel:DWORD dst_unused:UNUSED_PAD src0_sel:WORD_1
	v_cvt_f32_f16_sdwa v19, v58 dst_sel:DWORD dst_unused:UNUSED_PAD src0_sel:WORD_1
	v_cvt_f32_f16_e32 v18, v58
	v_cvt_f32_f16_e32 v20, v20
	v_add_u32_e32 v16, 0x100, v26
	v_mov_b32_e32 v17, v27
	v_lshlrev_b64 v[16:17], 2, v[16:17]
	v_add_co_u32_e32 v24, vcc, s20, v16
	v_addc_co_u32_e32 v25, vcc, v3, v17, vcc
	v_pk_mul_f32 v[16:17], v[14:15], v[18:19] op_sel_hi:[0,1]
	v_pk_mul_f32 v[18:19], v[14:15], v[20:21] op_sel_hi:[0,1]
	global_store_dwordx4 v[24:25], v[16:19], off
	v_cvt_f32_f16_sdwa v21, v6 dst_sel:DWORD dst_unused:UNUSED_PAD src0_sel:WORD_1
	v_cvt_f32_f16_sdwa v19, v57 dst_sel:DWORD dst_unused:UNUSED_PAD src0_sel:WORD_1
	v_cvt_f32_f16_e32 v18, v57
	v_cvt_f32_f16_e32 v20, v6
	v_add_u32_e32 v26, 0x180, v26
	v_lshlrev_b64 v[16:17], 2, v[26:27]
	v_add_co_u32_e32 v24, vcc, s20, v16
	v_addc_co_u32_e32 v25, vcc, v3, v17, vcc
	v_pk_mul_f32 v[16:17], v[14:15], v[18:19] op_sel_hi:[0,1]
	v_pk_mul_f32 v[18:19], v[14:15], v[20:21] op_sel_hi:[0,1]
	global_store_dwordx4 v[24:25], v[16:19], off
	s_and_saveexec_b64 s[2:3], s[0:1]
	s_cbranch_execz .LBB26_49
; %bb.48:
	v_ashrrev_i32_e32 v9, 31, v8
	v_lshlrev_b64 v[14:15], 3, v[8:9]
	v_mov_b32_e32 v3, s23
	v_add_co_u32_e32 v14, vcc, s22, v14
	v_addc_co_u32_e32 v15, vcc, v3, v15, vcc
	v_mov_b32_e32 v16, v10
	v_mov_b32_e32 v17, v12
	global_store_dwordx2 v[14:15], v[16:17], off
.LBB26_49:
	s_or_b64 exec, exec, s[2:3]
	s_andn2_b64 vcc, exec, s[4:5]
	v_mov_b32_e32 v10, 1.0
	s_cbranch_vccnz .LBB26_51
; %bb.50:
	v_div_scale_f32 v3, s[2:3], v13, v13, 1.0
	v_rcp_f32_e32 v6, v3
	v_div_scale_f32 v9, vcc, 1.0, v13, 1.0
	v_fma_f32 v10, -v3, v6, 1.0
	v_fmac_f32_e32 v6, v10, v6
	v_mul_f32_e32 v10, v9, v6
	v_fma_f32 v12, -v3, v10, v9
	v_fmac_f32_e32 v10, v12, v6
	v_fma_f32 v3, -v3, v10, v9
	v_div_fmas_f32 v3, v3, v6, v10
	v_div_fixup_f32 v10, v3, v13, 1.0
.LBB26_51:
	v_add_u32_e32 v6, s6, v8
	v_cvt_f32_f16_sdwa v17, v55 dst_sel:DWORD dst_unused:UNUSED_PAD src0_sel:WORD_1
	v_cvt_f32_f16_e32 v16, v55
	v_cvt_f32_f16_sdwa v19, v4 dst_sel:DWORD dst_unused:UNUSED_PAD src0_sel:WORD_1
	v_cvt_f32_f16_e32 v18, v4
	v_lshl_add_u32 v8, v6, 9, v23
	v_mov_b32_e32 v9, 0
	v_lshlrev_b64 v[14:15], 2, v[8:9]
	v_mov_b32_e32 v12, s21
	v_add_co_u32_e32 v20, vcc, s20, v14
	v_addc_co_u32_e32 v21, vcc, v12, v15, vcc
	v_pk_mul_f32 v[14:15], v[10:11], v[16:17] op_sel_hi:[0,1]
	v_pk_mul_f32 v[16:17], v[10:11], v[18:19] op_sel_hi:[0,1]
	global_store_dwordx4 v[20:21], v[14:17], off
	v_cvt_f32_f16_sdwa v3, v2 dst_sel:DWORD dst_unused:UNUSED_PAD src0_sel:WORD_1
	v_cvt_f32_f16_sdwa v17, v56 dst_sel:DWORD dst_unused:UNUSED_PAD src0_sel:WORD_1
	v_cvt_f32_f16_e32 v16, v56
	v_cvt_f32_f16_e32 v2, v2
	v_add_u32_e32 v14, 0x80, v8
	v_mov_b32_e32 v15, v9
	v_lshlrev_b64 v[14:15], 2, v[14:15]
	v_add_co_u32_e32 v18, vcc, s20, v14
	v_addc_co_u32_e32 v19, vcc, v12, v15, vcc
	v_pk_mul_f32 v[14:15], v[10:11], v[16:17] op_sel_hi:[0,1]
	v_pk_mul_f32 v[16:17], v[10:11], v[2:3] op_sel_hi:[0,1]
	global_store_dwordx4 v[18:19], v[14:17], off
	v_add_u32_e32 v2, 0x100, v8
	v_cvt_f32_f16_sdwa v15, v7 dst_sel:DWORD dst_unused:UNUSED_PAD src0_sel:WORD_1
	v_cvt_f32_f16_e32 v14, v7
	v_cvt_f32_f16_sdwa v17, v0 dst_sel:DWORD dst_unused:UNUSED_PAD src0_sel:WORD_1
	v_cvt_f32_f16_e32 v16, v0
	v_mov_b32_e32 v3, v9
	v_lshlrev_b64 v[2:3], 2, v[2:3]
	v_add_co_u32_e32 v2, vcc, s20, v2
	v_addc_co_u32_e32 v3, vcc, v12, v3, vcc
	v_pk_mul_f32 v[14:15], v[10:11], v[14:15] op_sel_hi:[0,1]
	v_pk_mul_f32 v[16:17], v[10:11], v[16:17] op_sel_hi:[0,1]
	v_add_u32_e32 v8, 0x180, v8
	global_store_dwordx4 v[2:3], v[14:17], off
	v_lshlrev_b64 v[2:3], 2, v[8:9]
	v_cvt_f32_f16_sdwa v9, v5 dst_sel:DWORD dst_unused:UNUSED_PAD src0_sel:WORD_1
	v_cvt_f32_f16_e32 v8, v5
	v_cvt_f32_f16_sdwa v5, v1 dst_sel:DWORD dst_unused:UNUSED_PAD src0_sel:WORD_1
	v_cvt_f32_f16_e32 v4, v1
	v_add_co_u32_e32 v14, vcc, s20, v2
	v_addc_co_u32_e32 v15, vcc, v12, v3, vcc
	v_pk_mul_f32 v[0:1], v[10:11], v[8:9] op_sel_hi:[0,1]
	v_pk_mul_f32 v[2:3], v[10:11], v[4:5] op_sel_hi:[0,1]
	global_store_dwordx4 v[14:15], v[0:3], off
	s_and_b64 exec, exec, s[0:1]
	s_cbranch_execz .LBB26_53
; %bb.52:
	v_ashrrev_i32_e32 v7, 31, v6
	v_lshlrev_b64 v[0:1], 3, v[6:7]
	v_mov_b32_e32 v2, s23
	v_add_co_u32_e32 v0, vcc, s22, v0
	v_addc_co_u32_e32 v1, vcc, v2, v1, vcc
	v_mov_b32_e32 v12, v11
	global_store_dwordx2 v[0:1], v[12:13], off
.LBB26_53:
	s_endpgm
	.section	.rodata,"a",@progbits
	.p2align	6, 0x0
	.amdhsa_kernel _ZL15flash_attn_tileILi512ELi512ELi4ELi8ELb1EEvPKcS1_S1_S1_S1_PKiPfP15HIP_vector_typeIfLj2EEffffjfiS5_IjLj3EEiiiiiiiiiiiliiliiiiil
		.amdhsa_group_segment_fixed_size 59392
		.amdhsa_private_segment_fixed_size 0
		.amdhsa_kernarg_size 464
		.amdhsa_user_sgpr_count 6
		.amdhsa_user_sgpr_private_segment_buffer 1
		.amdhsa_user_sgpr_dispatch_ptr 0
		.amdhsa_user_sgpr_queue_ptr 0
		.amdhsa_user_sgpr_kernarg_segment_ptr 1
		.amdhsa_user_sgpr_dispatch_id 0
		.amdhsa_user_sgpr_flat_scratch_init 0
		.amdhsa_user_sgpr_kernarg_preload_length 0
		.amdhsa_user_sgpr_kernarg_preload_offset 0
		.amdhsa_user_sgpr_private_segment_size 0
		.amdhsa_uses_dynamic_stack 0
		.amdhsa_system_sgpr_private_segment_wavefront_offset 0
		.amdhsa_system_sgpr_workgroup_id_x 1
		.amdhsa_system_sgpr_workgroup_id_y 1
		.amdhsa_system_sgpr_workgroup_id_z 1
		.amdhsa_system_sgpr_workgroup_info 0
		.amdhsa_system_vgpr_workitem_id 1
		.amdhsa_next_free_vgpr 120
		.amdhsa_next_free_sgpr 40
		.amdhsa_accum_offset 120
		.amdhsa_reserve_vcc 1
		.amdhsa_reserve_flat_scratch 0
		.amdhsa_float_round_mode_32 0
		.amdhsa_float_round_mode_16_64 0
		.amdhsa_float_denorm_mode_32 3
		.amdhsa_float_denorm_mode_16_64 3
		.amdhsa_dx10_clamp 1
		.amdhsa_ieee_mode 1
		.amdhsa_fp16_overflow 0
		.amdhsa_tg_split 0
		.amdhsa_exception_fp_ieee_invalid_op 0
		.amdhsa_exception_fp_denorm_src 0
		.amdhsa_exception_fp_ieee_div_zero 0
		.amdhsa_exception_fp_ieee_overflow 0
		.amdhsa_exception_fp_ieee_underflow 0
		.amdhsa_exception_fp_ieee_inexact 0
		.amdhsa_exception_int_div_zero 0
	.end_amdhsa_kernel
	.section	.text._ZL15flash_attn_tileILi512ELi512ELi4ELi8ELb1EEvPKcS1_S1_S1_S1_PKiPfP15HIP_vector_typeIfLj2EEffffjfiS5_IjLj3EEiiiiiiiiiiiliiliiiiil,"axG",@progbits,_ZL15flash_attn_tileILi512ELi512ELi4ELi8ELb1EEvPKcS1_S1_S1_S1_PKiPfP15HIP_vector_typeIfLj2EEffffjfiS5_IjLj3EEiiiiiiiiiiiliiliiiiil,comdat
.Lfunc_end26:
	.size	_ZL15flash_attn_tileILi512ELi512ELi4ELi8ELb1EEvPKcS1_S1_S1_S1_PKiPfP15HIP_vector_typeIfLj2EEffffjfiS5_IjLj3EEiiiiiiiiiiiliiliiiiil, .Lfunc_end26-_ZL15flash_attn_tileILi512ELi512ELi4ELi8ELb1EEvPKcS1_S1_S1_S1_PKiPfP15HIP_vector_typeIfLj2EEffffjfiS5_IjLj3EEiiiiiiiiiiiliiliiiiil
                                        ; -- End function
	.section	.AMDGPU.csdata,"",@progbits
; Kernel info:
; codeLenInByte = 47688
; NumSgprs: 44
; NumVgprs: 120
; NumAgprs: 0
; TotalNumVgprs: 120
; ScratchSize: 0
; MemoryBound: 0
; FloatMode: 240
; IeeeMode: 1
; LDSByteSize: 59392 bytes/workgroup (compile time only)
; SGPRBlocks: 5
; VGPRBlocks: 14
; NumSGPRsForWavesPerEU: 44
; NumVGPRsForWavesPerEU: 120
; AccumOffset: 120
; Occupancy: 2
; WaveLimiterHint : 1
; COMPUTE_PGM_RSRC2:SCRATCH_EN: 0
; COMPUTE_PGM_RSRC2:USER_SGPR: 6
; COMPUTE_PGM_RSRC2:TRAP_HANDLER: 0
; COMPUTE_PGM_RSRC2:TGID_X_EN: 1
; COMPUTE_PGM_RSRC2:TGID_Y_EN: 1
; COMPUTE_PGM_RSRC2:TGID_Z_EN: 1
; COMPUTE_PGM_RSRC2:TIDIG_COMP_CNT: 1
; COMPUTE_PGM_RSRC3_GFX90A:ACCUM_OFFSET: 29
; COMPUTE_PGM_RSRC3_GFX90A:TG_SPLIT: 0
	.section	.text._ZL15flash_attn_tileILi512ELi512ELi2ELi8ELb1EEvPKcS1_S1_S1_S1_PKiPfP15HIP_vector_typeIfLj2EEffffjfiS5_IjLj3EEiiiiiiiiiiiliiliiiiil,"axG",@progbits,_ZL15flash_attn_tileILi512ELi512ELi2ELi8ELb1EEvPKcS1_S1_S1_S1_PKiPfP15HIP_vector_typeIfLj2EEffffjfiS5_IjLj3EEiiiiiiiiiiiliiliiiiil,comdat
	.globl	_ZL15flash_attn_tileILi512ELi512ELi2ELi8ELb1EEvPKcS1_S1_S1_S1_PKiPfP15HIP_vector_typeIfLj2EEffffjfiS5_IjLj3EEiiiiiiiiiiiliiliiiiil ; -- Begin function _ZL15flash_attn_tileILi512ELi512ELi2ELi8ELb1EEvPKcS1_S1_S1_S1_PKiPfP15HIP_vector_typeIfLj2EEffffjfiS5_IjLj3EEiiiiiiiiiiiliiliiiiil
	.p2align	8
	.type	_ZL15flash_attn_tileILi512ELi512ELi2ELi8ELb1EEvPKcS1_S1_S1_S1_PKiPfP15HIP_vector_typeIfLj2EEffffjfiS5_IjLj3EEiiiiiiiiiiiliiliiiiil,@function
_ZL15flash_attn_tileILi512ELi512ELi2ELi8ELb1EEvPKcS1_S1_S1_S1_PKiPfP15HIP_vector_typeIfLj2EEffffjfiS5_IjLj3EEiiiiiiiiiiiliiliiiiil: ; @_ZL15flash_attn_tileILi512ELi512ELi2ELi8ELb1EEvPKcS1_S1_S1_S1_PKiPfP15HIP_vector_typeIfLj2EEffffjfiS5_IjLj3EEiiiiiiiiiiiliiliiiiil
; %bb.0:
	s_load_dwordx4 s[0:3], s[4:5], 0x5c
	s_load_dwordx2 s[28:29], s[4:5], 0x80
	s_load_dwordx2 s[34:35], s[4:5], 0xb8
	s_mov_b64 s[30:31], 0
	s_waitcnt lgkmcnt(0)
	s_ashr_i32 s9, s3, 31
	s_lshr_b32 s9, s9, 29
	s_add_i32 s9, s3, s9
	s_ashr_i32 s9, s9, 3
	v_cvt_f32_u32_e32 v1, s9
	s_sub_i32 s10, 0, s9
	v_rcp_iflag_f32_e32 v1, v1
	v_mul_f32_e32 v1, 0x4f7ffffe, v1
	v_cvt_u32_f32_e32 v1, v1
	v_readfirstlane_b32 s11, v1
	s_mul_i32 s10, s10, s11
	s_mul_hi_u32 s10, s11, s10
	s_add_i32 s11, s11, s10
	s_mul_hi_u32 s10, s8, s11
	s_mul_i32 s11, s10, s9
	s_sub_i32 s11, s8, s11
	s_add_i32 s12, s10, 1
	s_sub_i32 s13, s11, s9
	s_cmp_ge_u32 s11, s9
	s_cselect_b32 s10, s12, s10
	s_cselect_b32 s11, s13, s11
	s_add_i32 s12, s10, 1
	s_cmp_ge_u32 s11, s9
	s_cselect_b32 s33, s12, s10
	s_abs_i32 s9, s29
	v_cvt_f32_u32_e32 v1, s9
	s_lshl_b32 s8, s8, 3
	s_mul_i32 s12, s33, s3
	s_xor_b32 s10, s3, s29
	v_rcp_iflag_f32_e32 v1, v1
	s_sub_i32 s13, 0, s9
	s_sub_i32 s29, s8, s12
	s_abs_i32 s11, s3
	v_mul_f32_e32 v1, 0x4f7ffffe, v1
	v_cvt_u32_f32_e32 v1, v1
	s_ashr_i32 s10, s10, 31
	v_readfirstlane_b32 s8, v1
	s_mul_i32 s13, s13, s8
	s_mul_hi_u32 s12, s8, s13
	s_add_i32 s8, s8, s12
	s_mul_hi_u32 s8, s11, s8
	s_mul_i32 s12, s8, s9
	s_sub_i32 s11, s11, s12
	s_add_i32 s13, s8, 1
	s_sub_i32 s12, s11, s9
	s_cmp_ge_u32 s11, s9
	s_cselect_b32 s8, s13, s8
	s_cselect_b32 s11, s12, s11
	s_add_i32 s12, s8, 1
	s_cmp_ge_u32 s11, s9
	s_cselect_b32 s8, s12, s8
	s_xor_b32 s8, s8, s10
	s_sub_i32 s37, s8, s10
	s_abs_i32 s36, s37
	v_cvt_f32_u32_e32 v1, s36
	s_load_dwordx16 s[8:23], s[4:5], 0x0
	v_rcp_iflag_f32_e32 v1, v1
	s_waitcnt lgkmcnt(0)
	s_cmp_eq_u64 s[14:15], 0
	v_mul_f32_e32 v1, 0x4f7ffffe, v1
	v_cvt_u32_f32_e32 v1, v1
	v_readfirstlane_b32 s38, v1
	s_cbranch_scc1 .LBB27_2
; %bb.1:
	s_abs_i32 s26, s34
	v_cvt_f32_u32_e32 v1, s26
	s_sub_i32 s31, 0, s26
	s_abs_i32 s30, s33
	s_ashr_i32 s27, s33, 31
	v_rcp_iflag_f32_e32 v1, v1
	s_load_dwordx2 s[24:25], s[4:5], 0xc8
	v_mul_f32_e32 v1, 0x4f7ffffe, v1
	v_cvt_u32_f32_e32 v1, v1
	v_readfirstlane_b32 s34, v1
	s_mul_i32 s31, s31, s34
	s_mul_hi_u32 s31, s34, s31
	s_add_i32 s34, s34, s31
	s_mul_hi_u32 s31, s30, s34
	s_mul_i32 s31, s31, s26
	s_sub_i32 s30, s30, s31
	s_sub_i32 s31, s30, s26
	s_cmp_ge_u32 s30, s26
	s_cselect_b32 s30, s31, s30
	s_sub_i32 s31, s30, s26
	s_cmp_ge_u32 s30, s26
	s_cselect_b32 s26, s31, s30
	s_xor_b32 s26, s26, s27
	s_sub_i32 s26, s26, s27
	s_ashr_i32 s27, s26, 31
	s_waitcnt lgkmcnt(0)
	s_mul_i32 s25, s26, s25
	s_mul_hi_u32 s30, s26, s24
	s_add_i32 s25, s30, s25
	s_mul_i32 s27, s27, s24
	s_add_i32 s25, s25, s27
	s_mul_i32 s26, s26, s24
	s_add_u32 s30, s14, s26
	s_addc_u32 s31, s15, s25
.LBB27_2:
	s_load_dwordx4 s[24:27], s[4:5], 0x70
	v_bfe_u32 v12, v0, 10, 10
	v_lshrrev_b32_e32 v1, 2, v12
	v_lshl_add_u32 v5, s6, 1, v1
	v_mul_hi_u32 v1, s0, v5
	s_waitcnt lgkmcnt(0)
	s_mul_i32 s14, s33, s26
	s_ashr_i32 s26, s14, 31
	s_mul_i32 s15, s29, s25
	s_add_u32 s8, s8, s14
	v_add_u32_e32 v1, v5, v1
	s_addc_u32 s9, s9, s26
	s_ashr_i32 s14, s15, 31
	v_lshrrev_b32_e32 v1, s1, v1
	s_add_u32 s8, s8, s15
	v_mul_lo_u32 v1, v1, s2
	s_addc_u32 s9, s9, s14
	v_sub_u32_e32 v10, v5, v1
	s_ashr_i32 s15, s24, 31
	v_mov_b32_e32 v1, s24
	v_alignbit_b32 v1, s15, v1, 2
	v_mad_u64_u32 v[2:3], s[0:1], v1, v10, 0
	v_mov_b32_e32 v4, v3
	s_lshr_b32 s0, s15, 2
	v_mad_u64_u32 v[6:7], s[0:1], s0, v10, v[4:5]
	v_mov_b32_e32 v3, v6
	v_and_b32_e32 v4, 0x3ff, v0
	v_lshlrev_b64 v[0:1], 2, v[2:3]
	v_mov_b32_e32 v2, s9
	v_add_co_u32_e32 v0, vcc, s8, v0
	v_addc_co_u32_e32 v1, vcc, v2, v1, vcc
	v_lshlrev_b32_e32 v2, 4, v4
	v_lshlrev_b32_e32 v11, 1, v12
	s_ashr_i32 s14, s25, 31
	v_add_co_u32_e32 v13, vcc, v0, v2
	v_mov_b32_e32 v0, s25
	v_and_b32_e32 v17, 6, v11
	v_alignbit_b32 v16, s14, v0, 2
	v_addc_co_u32_e32 v28, vcc, 0, v1, vcc
	v_mad_u64_u32 v[0:1], s[0:1], v16, v17, 0
	v_mov_b32_e32 v2, v1
	s_lshr_b32 s8, s14, 2
	v_mad_u64_u32 v[2:3], s[0:1], s8, v17, v[2:3]
	v_mov_b32_e32 v1, v2
	v_lshlrev_b64 v[0:1], 2, v[0:1]
	v_add_co_u32_e32 v14, vcc, v13, v0
	v_addc_co_u32_e32 v15, vcc, v28, v1, vcc
	global_load_dwordx4 v[0:3], v[14:15], off
	global_load_dwordx4 v[6:9], v[14:15], off offset:512
	global_load_dwordx4 v[18:21], v[14:15], off offset:1024
	;; [unrolled: 1-line block ×3, first 2 shown]
	v_or_b32_e32 v11, 1, v11
	v_and_b32_e32 v26, 7, v11
	v_mad_u64_u32 v[14:15], s[0:1], v16, v26, 0
	v_mov_b32_e32 v16, v15
	v_mad_u64_u32 v[26:27], s[0:1], s8, v26, v[16:17]
	v_mov_b32_e32 v15, v26
	v_lshlrev_b64 v[14:15], 2, v[14:15]
	v_add_co_u32_e32 v14, vcc, v13, v14
	v_addc_co_u32_e32 v15, vcc, v28, v15, vcc
	global_load_dwordx4 v[26:29], v[14:15], off
	global_load_dwordx4 v[30:33], v[14:15], off offset:512
	global_load_dwordx4 v[34:37], v[14:15], off offset:1024
	;; [unrolled: 1-line block ×3, first 2 shown]
	s_load_dword s0, s[4:5], 0x40
	s_mov_b32 s1, 0
	v_lshlrev_b32_e32 v14, 3, v4
	v_lshl_or_b32 v16, v12, 11, v14
	v_lshlrev_b32_e32 v13, 1, v4
	s_cmp_eq_u64 s[18:19], 0
	s_waitcnt vmcnt(7) lgkmcnt(0)
	v_pk_mul_f32 v[0:1], v[0:1], s[0:1] op_sel_hi:[1,0]
	v_pk_mul_f32 v[2:3], v[2:3], s[0:1] op_sel_hi:[1,0]
	s_waitcnt vmcnt(6)
	v_pk_mul_f32 v[6:7], v[6:7], s[0:1] op_sel_hi:[1,0]
	v_pk_mul_f32 v[8:9], v[8:9], s[0:1] op_sel_hi:[1,0]
	s_waitcnt vmcnt(5)
	;; [unrolled: 3-line block ×3, first 2 shown]
	v_pk_mul_f32 v[20:21], v[22:23], s[0:1] op_sel_hi:[1,0]
	v_cvt_f16_f32_e32 v22, v1
	v_cvt_f16_f32_e32 v0, v0
	;; [unrolled: 1-line block ×8, first 2 shown]
	v_pack_b32_f16 v1, v2, v1
	v_pack_b32_f16 v0, v0, v22
	;; [unrolled: 1-line block ×4, first 2 shown]
	ds_write2_b64 v16, v[0:1], v[2:3] offset1:32
	v_pk_mul_f32 v[0:1], v[24:25], s[0:1] op_sel_hi:[1,0]
	v_cvt_f16_f32_e32 v9, v15
	v_cvt_f16_f32_e32 v14, v14
	v_cvt_f16_f32_e32 v15, v19
	v_cvt_f16_f32_e32 v18, v18
	v_cvt_f16_f32_e32 v19, v21
	v_cvt_f16_f32_e32 v2, v1
	v_cvt_f16_f32_e32 v3, v0
	v_cvt_f16_f32_e32 v6, v20
	v_pack_b32_f16 v1, v18, v15
	v_pack_b32_f16 v0, v14, v9
	;; [unrolled: 1-line block ×4, first 2 shown]
	ds_write2_b64 v16, v[0:1], v[2:3] offset0:64 offset1:96
	s_waitcnt vmcnt(3)
	v_pk_mul_f32 v[0:1], v[26:27], s[0:1] op_sel_hi:[1,0]
	v_lshlrev_b32_e32 v2, 8, v11
	v_cvt_f16_f32_e32 v6, v1
	v_cvt_f16_f32_e32 v7, v0
	v_pk_mul_f32 v[0:1], v[28:29], s[0:1] op_sel_hi:[1,0]
	v_cvt_f16_f32_e32 v8, v1
	v_cvt_f16_f32_e32 v9, v0
	v_add_lshl_u32 v11, v2, v13, 2
	s_waitcnt vmcnt(2)
	v_pk_mul_f32 v[0:1], v[30:31], s[0:1] op_sel_hi:[1,0]
	v_pk_mul_f32 v[2:3], v[32:33], s[0:1] op_sel_hi:[1,0]
	v_cvt_f16_f32_e32 v13, v1
	v_cvt_f16_f32_e32 v3, v3
	;; [unrolled: 1-line block ×4, first 2 shown]
	v_pack_b32_f16 v1, v9, v8
	v_pack_b32_f16 v0, v7, v6
	;; [unrolled: 1-line block ×4, first 2 shown]
	ds_write2_b64 v11, v[0:1], v[2:3] offset1:32
	s_waitcnt vmcnt(1)
	v_pk_mul_f32 v[0:1], v[34:35], s[0:1] op_sel_hi:[1,0]
	v_cvt_f16_f32_e32 v6, v1
	v_cvt_f16_f32_e32 v7, v0
	v_pk_mul_f32 v[0:1], v[36:37], s[0:1] op_sel_hi:[1,0]
	v_cvt_f16_f32_e32 v8, v1
	v_cvt_f16_f32_e32 v9, v0
	s_waitcnt vmcnt(0)
	v_pk_mul_f32 v[0:1], v[38:39], s[0:1] op_sel_hi:[1,0]
	v_pk_mul_f32 v[2:3], v[40:41], s[0:1] op_sel_hi:[1,0]
	v_cvt_f16_f32_e32 v13, v1
	v_cvt_f16_f32_e32 v3, v3
	;; [unrolled: 1-line block ×4, first 2 shown]
	v_pack_b32_f16 v1, v9, v8
	v_pack_b32_f16 v0, v7, v6
	;; [unrolled: 1-line block ×4, first 2 shown]
	ds_write2_b64 v11, v[0:1], v[2:3] offset0:64 offset1:96
	s_waitcnt lgkmcnt(0)
	s_barrier
	s_cbranch_scc1 .LBB27_4
; %bb.3:
	s_load_dword s0, s[4:5], 0xd0
	s_waitcnt lgkmcnt(0)
	s_mul_i32 s0, s0, s33
	s_add_i32 s0, s0, s6
	s_lshl_b64 s[0:1], s[0:1], 2
	s_add_u32 s0, s18, s0
	s_addc_u32 s1, s19, s1
	s_load_dword s28, s[0:1], 0x0
.LBB27_4:
	s_lshl_b32 s6, s7, 6
	v_lshlrev_b32_e32 v19, 2, v4
	s_waitcnt lgkmcnt(0)
	s_cmp_lt_i32 s6, s28
	v_mbcnt_lo_u32_b32 v26, -1, 0
	s_cbranch_scc1 .LBB27_6
; %bb.5:
	v_mbcnt_hi_u32_b32 v11, -1, v26
	v_and_b32_e32 v0, 0x60, v11
	s_mov_b32 s0, 0xfeffffff
	s_mov_b32 s14, 0
	v_add_u32_e32 v28, 32, v0
	v_xor_b32_e32 v54, 16, v11
	v_xor_b32_e32 v29, 8, v11
	;; [unrolled: 1-line block ×5, first 2 shown]
	s_mov_b32 s1, s0
	s_mov_b64 s[8:9], 0
	s_branch .LBB27_7
.LBB27_6:
	s_mov_b64 s[8:9], -1
                                        ; implicit-def: $sgpr14
                                        ; implicit-def: $sgpr0_sgpr1
                                        ; implicit-def: $vgpr11
                                        ; implicit-def: $vgpr28
                                        ; implicit-def: $vgpr54
                                        ; implicit-def: $vgpr29
                                        ; implicit-def: $vgpr51
                                        ; implicit-def: $vgpr52
                                        ; implicit-def: $vgpr53
.LBB27_7:
	s_andn2_b64 vcc, exec, s[8:9]
	v_mov_b32_e32 v9, s14
	v_mov_b32_e32 v48, s14
	v_pk_mov_b32 v[6:7], s[0:1], s[0:1] op_sel:[0,1]
	v_mov_b32_e32 v47, s14
	v_mov_b32_e32 v8, s14
	;; [unrolled: 1-line block ×16, first 2 shown]
	s_cbranch_vccnz .LBB27_26
; %bb.8:
	s_sub_i32 s0, 0, s36
	s_mul_i32 s0, s0, s38
	s_mul_hi_u32 s0, s38, s0
	s_add_i32 s38, s38, s0
	s_load_dwordx4 s[24:27], s[4:5], 0x98
	s_load_dword s0, s[4:5], 0x54
	s_load_dwordx2 s[8:9], s[4:5], 0x8c
	s_abs_i32 s1, s29
	s_mul_hi_u32 s18, s1, s38
	s_waitcnt lgkmcnt(0)
	s_ashr_i32 s14, s26, 2
	s_ashr_i32 s26, s35, 1
	;; [unrolled: 1-line block ×4, first 2 shown]
	s_mul_i32 s25, s33, s25
	s_mul_hi_u32 s35, s33, s24
	s_add_i32 s25, s35, s25
	s_mul_i32 s35, s8, s24
	s_ashr_i32 s19, s29, 31
	s_ashr_i32 s34, s37, 31
	s_add_i32 s25, s25, s35
	s_mul_i32 s24, s33, s24
	s_add_u32 s10, s10, s24
	s_mul_i32 s24, s18, s36
	s_addc_u32 s11, s11, s25
	s_sub_i32 s1, s1, s24
	s_xor_b32 s19, s19, s34
	s_add_i32 s24, s18, 1
	s_sub_i32 s25, s1, s36
	s_cmp_ge_u32 s1, s36
	s_cselect_b32 s18, s24, s18
	s_cselect_b32 s1, s25, s1
	s_add_i32 s24, s18, 1
	s_cmp_ge_u32 s1, s36
	s_load_dwordx2 s[38:39], s[4:5], 0xa8
	s_cselect_b32 s1, s24, s18
	s_xor_b32 s1, s1, s19
	s_sub_i32 s1, s1, s19
	s_mul_i32 s9, s1, s9
	s_ashr_i32 s19, s9, 31
	s_add_u32 s18, s10, s9
	s_waitcnt lgkmcnt(0)
	s_mul_i32 s9, s33, s39
	s_mul_hi_u32 s10, s33, s38
	s_addc_u32 s19, s11, s19
	s_add_i32 s9, s10, s9
	s_mul_i32 s8, s8, s38
	s_add_i32 s9, s9, s8
	s_mul_i32 s8, s33, s38
	s_add_u32 s8, s12, s8
	s_mul_i32 s1, s1, s27
	v_lshrrev_b32_e32 v0, 3, v4
	s_addc_u32 s9, s13, s9
	s_ashr_i32 s10, s1, 31
	v_lshl_add_u32 v2, v12, 2, v0
	v_and_b32_e32 v0, 28, v19
	s_add_u32 s1, s8, s1
	v_lshlrev_b32_e32 v3, 2, v0
	s_movk_i32 s8, 0x90
	v_mad_u32_u24 v6, v2, s8, v3
	v_add_u32_e32 v21, 0x4000, v6
	v_add_u32_e32 v23, 0x5200, v6
	v_mov_b32_e32 v6, 0x6400
	v_lshl_add_u32 v31, v12, 8, v6
	v_mul_lo_u32 v6, s14, v12
	s_addc_u32 s10, s9, s10
	v_mad_u64_u32 v[10:11], s[8:9], v10, s26, v[4:5]
	v_ashrrev_i32_e32 v7, 31, v6
	v_lshlrev_b32_e32 v11, 2, v19
	v_lshlrev_b64 v[6:7], 2, v[6:7]
	v_mul_lo_u32 v2, s15, v2
	v_lshlrev_b32_e32 v30, 11, v12
	v_lshl_add_u32 v13, v12, 10, v11
	v_mov_b32_e32 v12, s10
	v_add_co_u32_e32 v6, vcc, s1, v6
	v_lshl_add_u32 v8, s15, 5, v2
	v_addc_co_u32_e32 v7, vcc, v12, v7, vcc
	v_mov_b32_e32 v1, 0
	v_ashrrev_i32_e32 v3, 31, v2
	v_ashrrev_i32_e32 v9, 31, v8
	v_mov_b32_e32 v12, 0x4000
	s_add_u32 s8, s4, 0xd0
	v_add_co_u32_e32 v35, vcc, v6, v11
	v_mov_b32_e32 v6, 0xfeffffff
	v_mul_u32_u24_e32 v25, 0x90, v4
	v_add_u32_e32 v32, 0x4000, v13
	v_add_u32_e32 v33, 0x4200, v13
	v_lshl_or_b32 v34, v4, 3, v12
	s_addc_u32 s9, s5, 0
	s_mov_b32 s1, s0
	v_addc_co_u32_e32 v36, vcc, 0, v7, vcc
	v_lshlrev_b64 v[12:13], 2, v[2:3]
	v_lshlrev_b32_e32 v37, 2, v0
	v_lshlrev_b64 v[14:15], 2, v[8:9]
	s_mov_b32 s12, 0x3f200000
	s_mov_b32 s13, 0x3fb8aa3b
	;; [unrolled: 1-line block ×4, first 2 shown]
	v_mov_b32_e32 v38, 0xbd5c1c4e
	v_mov_b32_e32 v39, 0x3e088382
	;; [unrolled: 1-line block ×3, first 2 shown]
	s_brev_b32 s26, -2
	v_mbcnt_hi_u32_b32 v11, -1, v26
	v_mov_b32_e32 v41, 0x7f800000
	v_mov_b32_e32 v47, 0
	;; [unrolled: 1-line block ×19, first 2 shown]
	s_branch .LBB27_10
.LBB27_9:                               ;   in Loop: Header=BB27_10 Depth=1
	s_or_b64 exec, exec, s[10:11]
	v_cvt_f32_f16_e32 v66, v55
	v_cvt_f32_f16_e32 v67, v59
	v_bfi_b32 v65, s26, v65, v50
	v_bfi_b32 v64, s26, v64, v49
	s_mul_hi_i32 s11, s6, s14
	v_pk_fma_f32 v[64:65], v[64:65], s[0:1], v[66:67]
	v_add_f32_e32 v49, 0x40051340, v64
	v_add_f32_e32 v50, 0x40051340, v65
	v_max3_f32 v49, v7, v49, v50
	ds_bpermute_b32 v50, v56, v49
	v_mov_b32_e32 v66, v6
	v_mov_b32_e32 v67, v7
	s_mul_i32 s10, s6, s14
	s_lshl_b64 s[10:11], s[10:11], 2
	s_waitcnt lgkmcnt(0)
	v_max_f32_e32 v50, v50, v50
	v_max_f32_e32 v49, v49, v50
	ds_bpermute_b32 v50, v57, v49
	s_waitcnt lgkmcnt(0)
	s_barrier
	v_max_f32_e32 v50, v50, v50
	v_max_f32_e32 v49, v49, v50
	ds_bpermute_b32 v50, v58, v49
	s_waitcnt lgkmcnt(0)
	v_max_f32_e32 v50, v50, v50
	v_max_f32_e32 v49, v49, v50
	ds_bpermute_b32 v50, v61, v49
	s_waitcnt lgkmcnt(0)
	v_max_f32_e32 v6, v50, v50
	v_max_f32_e32 v7, v49, v6
	ds_bpermute_b32 v49, v63, v7
	v_max_f32_e32 v6, v62, v62
	v_max_f32_e32 v50, v60, v60
	;; [unrolled: 1-line block ×3, first 2 shown]
	s_waitcnt lgkmcnt(0)
	v_max_f32_e32 v49, v49, v49
	v_max_f32_e32 v7, v7, v49
	v_pk_add_f32 v[26:27], v[26:27], v[6:7] op_sel_hi:[1,0] neg_lo:[0,1] neg_hi:[0,1]
	v_mul_f32_e32 v49, 0x3fb8aa3b, v27
	v_fma_f32 v55, v27, s13, -v49
	v_rndne_f32_e32 v56, v49
	v_mul_f32_e32 v50, 0x3fb8aa3b, v26
	v_fmac_f32_e32 v55, 0x32a5705f, v27
	v_sub_f32_e32 v49, v49, v56
	v_fma_f32 v57, v26, s13, -v50
	v_rndne_f32_e32 v58, v50
	v_add_f32_e32 v49, v49, v55
	v_cvt_i32_f32_e32 v56, v56
	v_fmac_f32_e32 v57, 0x32a5705f, v26
	v_sub_f32_e32 v50, v50, v58
	v_exp_f32_e32 v49, v49
	v_add_f32_e32 v50, v50, v57
	v_cvt_i32_f32_e32 v58, v58
	v_exp_f32_e32 v50, v50
	v_ldexp_f32 v49, v49, v56
	v_cmp_ngt_f32_e32 vcc, s24, v27
	v_cndmask_b32_e32 v49, 0, v49, vcc
	v_cmp_nlt_f32_e32 vcc, s25, v27
	v_ldexp_f32 v50, v50, v58
	v_cndmask_b32_e32 v68, v41, v49, vcc
	v_cmp_ngt_f32_e32 vcc, s24, v26
	v_cndmask_b32_e32 v27, 0, v50, vcc
	v_cmp_nlt_f32_e32 vcc, s25, v26
	v_cndmask_b32_e32 v26, v41, v27, vcc
	v_mov_b32_e32 v27, s11
	v_add_co_u32_e32 v70, vcc, s10, v35
	v_addc_co_u32_e32 v71, vcc, v36, v27, vcc
	global_load_dwordx4 v[56:59], v[70:71], off
	global_load_dwordx4 v[60:63], v[70:71], off offset:512
	v_mov_b32_e32 v50, v7
	v_pk_add_f32 v[64:65], v[64:65], v[50:51] op_sel_hi:[1,0] neg_lo:[0,1] neg_hi:[0,1]
	v_mul_f32_e32 v27, 0x3fb8aa3b, v65
	v_fma_f32 v49, v65, s13, -v27
	v_rndne_f32_e32 v50, v27
	v_fmac_f32_e32 v49, 0x32a5705f, v65
	v_sub_f32_e32 v27, v27, v50
	v_add_f32_e32 v27, v27, v49
	v_exp_f32_e32 v27, v27
	v_cvt_i32_f32_e32 v49, v50
	v_cmp_ngt_f32_e32 vcc, s24, v65
	v_pk_add_f32 v[66:67], v[66:67], v[6:7] neg_lo:[0,1] neg_hi:[0,1]
	v_cvt_f16_f32_e32 v50, v26
	v_ldexp_f32 v27, v27, v49
	v_mul_f32_e32 v49, 0x3fb8aa3b, v64
	v_fma_f32 v69, v64, s13, -v49
	v_rndne_f32_e32 v70, v49
	v_fmac_f32_e32 v69, 0x32a5705f, v64
	v_sub_f32_e32 v49, v49, v70
	v_add_f32_e32 v49, v49, v69
	v_exp_f32_e32 v49, v49
	v_cvt_i32_f32_e32 v70, v70
	v_cndmask_b32_e32 v27, 0, v27, vcc
	v_cmp_nlt_f32_e32 vcc, s25, v65
	v_cndmask_b32_e32 v69, v41, v27, vcc
	v_ldexp_f32 v27, v49, v70
	v_cmp_ngt_f32_e32 vcc, s24, v64
	v_cndmask_b32_e32 v27, 0, v27, vcc
	v_cmp_nlt_f32_e32 vcc, s25, v64
	v_cndmask_b32_e32 v27, v41, v27, vcc
	v_pk_add_f32 v[64:65], v[26:27], v[68:69]
	v_mul_f32_e32 v26, 0x3fb8aa3b, v67
	v_cvt_f16_f32_e32 v55, v68
	v_fma_f32 v49, v67, s13, -v26
	v_rndne_f32_e32 v68, v26
	v_fmac_f32_e32 v49, 0x32a5705f, v67
	v_sub_f32_e32 v26, v26, v68
	v_add_f32_e32 v26, v26, v49
	v_cvt_i32_f32_e32 v49, v68
	v_mul_f32_e32 v68, 0x3fb8aa3b, v66
	v_fma_f32 v70, v66, s13, -v68
	v_rndne_f32_e32 v71, v68
	v_fmac_f32_e32 v70, 0x32a5705f, v66
	v_sub_f32_e32 v68, v68, v71
	v_exp_f32_e32 v26, v26
	v_add_f32_e32 v68, v68, v70
	v_exp_f32_e32 v68, v68
	v_cvt_i32_f32_e32 v70, v71
	v_ldexp_f32 v26, v26, v49
	v_cmp_ngt_f32_e32 vcc, s24, v67
	v_cndmask_b32_e32 v26, 0, v26, vcc
	v_ldexp_f32 v49, v68, v70
	v_cmp_ngt_f32_e32 vcc, s24, v66
	v_cndmask_b32_e32 v49, 0, v49, vcc
	v_cmp_nlt_f32_e32 vcc, s25, v66
	v_cndmask_b32_e32 v66, v41, v49, vcc
	v_cvt_f16_f32_e32 v49, v66
	v_cmp_nlt_f32_e32 vcc, s25, v67
	v_cndmask_b32_e32 v67, v41, v26, vcc
	v_pk_fma_f32 v[8:9], v[8:9], v[66:67], v[64:65]
	v_pk_mul_f16 v26, v49, v48 op_sel_hi:[0,1]
	v_cvt_f16_f32_e32 v48, v67
	v_cvt_f16_f32_e32 v27, v27
	;; [unrolled: 1-line block ×3, first 2 shown]
	v_pk_mul_f16 v24, v49, v24 op_sel_hi:[0,1]
	v_pk_mul_f16 v68, v48, v2 op_sel_hi:[0,1]
	;; [unrolled: 1-line block ×3, first 2 shown]
	v_add_u32_e32 v0, v31, v19
	v_pack_b32_f16 v2, v50, v27
	v_pack_b32_f16 v27, v55, v64
	ds_write2_b32 v0, v2, v27 offset1:32
	s_waitcnt vmcnt(1)
	ds_write_b128 v32, v[56:59]
	s_waitcnt vmcnt(0)
	ds_write_b128 v33, v[60:63]
	s_waitcnt lgkmcnt(0)
	s_barrier
	ds_read2_b64 v[56:59], v34 offset1:32
	ds_read_b128 v[60:63], v31
	v_pk_mul_f16 v27, v48, v3 op_sel_hi:[0,1]
	v_pk_mul_f16 v50, v48, v1 op_sel_hi:[0,1]
	ds_read2_b64 v[64:67], v34 offset0:64 offset1:96
	ds_read_b128 v[0:3], v31 offset:16
	v_pk_mul_f16 v46, v49, v46 op_sel_hi:[0,1]
	s_waitcnt lgkmcnt(2)
	v_pk_mul_f16 v55, v56, v60 op_sel_hi:[1,0]
	v_pk_fma_f16 v55, v49, v47, v55 op_sel_hi:[0,1,1]
	v_pk_mul_f16 v47, v56, v60 op_sel:[0,1]
	v_pk_mul_f16 v16, v48, v16 op_sel_hi:[0,1]
	v_pk_mul_f16 v43, v48, v43 op_sel_hi:[0,1]
	v_pk_fma_f16 v56, v48, v44, v47 op_sel_hi:[0,1,1]
	v_pk_mul_f16 v44, v57, v60 op_sel_hi:[1,0]
	v_pk_mul_f16 v20, v49, v20 op_sel_hi:[0,1]
	;; [unrolled: 1-line block ×5, first 2 shown]
	v_pk_fma_f16 v22, v49, v22, v44 op_sel_hi:[0,1,1]
	v_pk_fma_f16 v16, v57, v60, v16 op_sel:[0,1,0]
	v_pk_fma_f16 v26, v58, v60, v26 op_sel_hi:[1,0,1]
	v_pk_fma_f16 v57, v58, v60, v43 op_sel:[0,1,0]
	;; [unrolled: 2-line block ×3, first 2 shown]
	s_waitcnt lgkmcnt(1)
	v_pk_fma_f16 v59, v64, v60, v46 op_sel_hi:[1,0,1]
	ds_read2_b64 v[46:49], v34 offset0:192 offset1:224
	v_pk_fma_f16 v64, v64, v60, v42 op_sel:[0,1,0]
	v_pk_fma_f16 v68, v66, v60, v45 op_sel_hi:[1,0,1]
	ds_read2_b64 v[42:45], v34 offset0:128 offset1:160
	v_pk_fma_f16 v20, v65, v60, v20 op_sel_hi:[1,0,1]
	v_pk_fma_f16 v65, v65, v60, v69 op_sel:[0,1,0]
	v_pk_fma_f16 v27, v66, v60, v27 op_sel:[0,1,0]
	v_pk_fma_f16 v18, v67, v60, v18 op_sel_hi:[1,0,1]
	v_pk_fma_f16 v50, v67, v60, v50 op_sel:[0,1,0]
	s_waitcnt lgkmcnt(1)
	v_pk_fma_f16 v60, v46, v61, v64 op_sel:[0,1,0]
	v_pk_fma_f16 v64, v47, v61, v20 op_sel_hi:[1,0,1]
	v_add_u32_e32 v20, 0x800, v34
	s_waitcnt lgkmcnt(0)
	v_pk_fma_f16 v55, v42, v61, v55 op_sel_hi:[1,0,1]
	v_pk_fma_f16 v56, v42, v61, v56 op_sel:[0,1,0]
	v_pk_fma_f16 v22, v43, v61, v22 op_sel_hi:[1,0,1]
	v_pk_fma_f16 v16, v43, v61, v16 op_sel:[0,1,0]
	;; [unrolled: 2-line block ×5, first 2 shown]
	v_pk_fma_f16 v66, v48, v61, v68 op_sel_hi:[1,0,1]
	ds_read2_b64 v[42:45], v20 offset1:32
	v_pk_fma_f16 v27, v48, v61, v27 op_sel:[0,1,0]
	v_pk_fma_f16 v18, v49, v61, v18 op_sel_hi:[1,0,1]
	v_pk_fma_f16 v50, v49, v61, v50 op_sel:[0,1,0]
	ds_read2_b64 v[46:49], v20 offset0:64 offset1:96
	s_or_b32 s10, s6, 8
	s_mul_hi_i32 s11, s10, s14
	s_mul_i32 s10, s10, s14
	s_lshl_b64 s[10:11], s[10:11], 2
	s_waitcnt lgkmcnt(1)
	v_pk_fma_f16 v101, v44, v62, v26 op_sel_hi:[1,0,1]
	s_waitcnt lgkmcnt(0)
	v_pk_fma_f16 v108, v48, v62, v27 op_sel:[0,1,0]
	v_mov_b32_e32 v27, s11
	v_add_co_u32_e32 v26, vcc, s10, v35
	v_pk_fma_f16 v100, v43, v62, v16 op_sel:[0,1,0]
	v_pk_fma_f16 v109, v49, v62, v18 op_sel_hi:[1,0,1]
	v_add_u32_e32 v18, 0x1000, v34
	v_add_u32_e32 v16, 0x1800, v34
	v_addc_co_u32_e32 v27, vcc, v36, v27, vcc
	v_pk_fma_f16 v55, v42, v62, v55 op_sel_hi:[1,0,1]
	v_pk_fma_f16 v61, v42, v62, v56 op_sel:[0,1,0]
	v_pk_fma_f16 v22, v43, v62, v22 op_sel_hi:[1,0,1]
	v_pk_fma_f16 v102, v44, v62, v57 op_sel:[0,1,0]
	;; [unrolled: 2-line block ×6, first 2 shown]
	ds_read2_b64 v[42:45], v20 offset0:128 offset1:160
	ds_read2_b64 v[46:49], v20 offset0:192 offset1:224
	ds_read2_b64 v[56:59], v18 offset1:32
	ds_read2_b64 v[64:67], v18 offset0:64 offset1:96
	ds_read2_b64 v[68:71], v18 offset0:128 offset1:160
	;; [unrolled: 1-line block ×3, first 2 shown]
	ds_read2_b64 v[76:79], v16 offset1:32
	ds_read2_b64 v[80:83], v16 offset0:64 offset1:96
	ds_read2_b64 v[84:87], v16 offset0:128 offset1:160
	;; [unrolled: 1-line block ×3, first 2 shown]
	s_waitcnt lgkmcnt(0)
	s_barrier
	global_load_dwordx4 v[92:95], v[26:27], off
	global_load_dwordx4 v[96:99], v[26:27], off offset:512
	v_pk_fma_f16 v26, v42, v63, v55 op_sel_hi:[1,0,1]
	v_pk_fma_f16 v27, v42, v63, v61 op_sel:[0,1,0]
	v_pk_fma_f16 v22, v43, v63, v22 op_sel_hi:[1,0,1]
	v_pk_fma_f16 v42, v43, v63, v100 op_sel:[0,1,0]
	;; [unrolled: 2-line block ×9, first 2 shown]
	v_pk_fma_f16 v42, v57, v0, v42 op_sel:[0,1,0]
	v_pk_fma_f16 v43, v58, v0, v43 op_sel_hi:[1,0,1]
	v_pk_fma_f16 v44, v58, v0, v44 op_sel:[0,1,0]
	v_pk_fma_f16 v45, v59, v0, v45 op_sel:[0,1,0]
	v_pk_fma_f16 v50, v64, v0, v55 op_sel_hi:[1,0,1]
	v_pk_fma_f16 v46, v64, v0, v46 op_sel:[0,1,0]
	v_pk_fma_f16 v55, v65, v0, v60 op_sel_hi:[1,0,1]
	v_pk_fma_f16 v47, v65, v0, v47 op_sel:[0,1,0]
	v_pk_fma_f16 v48, v66, v0, v48 op_sel:[0,1,0]
	v_pk_fma_f16 v22, v57, v0, v22 op_sel_hi:[1,0,1]
	v_pk_fma_f16 v24, v59, v0, v24 op_sel_hi:[1,0,1]
	;; [unrolled: 1-line block ×4, first 2 shown]
	v_pk_fma_f16 v0, v67, v0, v49 op_sel:[0,1,0]
	v_pk_fma_f16 v26, v68, v1, v26 op_sel_hi:[1,0,1]
	v_pk_fma_f16 v27, v68, v1, v27 op_sel:[0,1,0]
	v_pk_fma_f16 v42, v69, v1, v42 op_sel:[0,1,0]
	v_pk_fma_f16 v43, v70, v1, v43 op_sel_hi:[1,0,1]
	v_pk_fma_f16 v44, v70, v1, v44 op_sel:[0,1,0]
	;; [unrolled: 3-line block ×3, first 2 shown]
	v_pk_fma_f16 v50, v73, v1, v55 op_sel_hi:[1,0,1]
	v_pk_fma_f16 v47, v73, v1, v47 op_sel:[0,1,0]
	v_pk_fma_f16 v48, v74, v1, v48 op_sel:[0,1,0]
	v_pk_fma_f16 v22, v69, v1, v22 op_sel_hi:[1,0,1]
	v_pk_fma_f16 v24, v71, v1, v24 op_sel_hi:[1,0,1]
	;; [unrolled: 1-line block ×4, first 2 shown]
	v_pk_fma_f16 v0, v75, v1, v0 op_sel:[0,1,0]
	v_pk_fma_f16 v1, v76, v2, v26 op_sel_hi:[1,0,1]
	v_pk_fma_f16 v26, v76, v2, v27 op_sel:[0,1,0]
	v_pk_fma_f16 v27, v77, v2, v42 op_sel:[0,1,0]
	v_pk_fma_f16 v42, v78, v2, v43 op_sel_hi:[1,0,1]
	v_pk_fma_f16 v43, v78, v2, v44 op_sel:[0,1,0]
	v_pk_fma_f16 v44, v79, v2, v45 op_sel:[0,1,0]
	v_pk_fma_f16 v45, v80, v2, v49 op_sel_hi:[1,0,1]
	v_pk_fma_f16 v46, v80, v2, v46 op_sel:[0,1,0]
	v_pk_fma_f16 v49, v81, v2, v50 op_sel_hi:[1,0,1]
	v_pk_fma_f16 v47, v81, v2, v47 op_sel:[0,1,0]
	v_pk_fma_f16 v48, v82, v2, v48 op_sel:[0,1,0]
	v_pk_fma_f16 v61, v86, v3, v42 op_sel_hi:[1,0,1]
	v_pk_fma_f16 v62, v86, v3, v43 op_sel:[0,1,0]
	v_pk_fma_f16 v63, v87, v3, v44 op_sel:[0,1,0]
	v_pk_fma_f16 v64, v88, v3, v45 op_sel_hi:[1,0,1]
	v_pk_fma_f16 v65, v88, v3, v46 op_sel:[0,1,0]
	v_pk_fma_f16 v66, v89, v3, v49 op_sel_hi:[1,0,1]
	v_pk_fma_f16 v67, v89, v3, v47 op_sel:[0,1,0]
	v_pk_fma_f16 v68, v90, v3, v48 op_sel:[0,1,0]
	s_waitcnt vmcnt(1)
	ds_write_b128 v32, v[92:95]
	s_waitcnt vmcnt(0)
	ds_write_b128 v33, v[96:99]
	s_waitcnt lgkmcnt(0)
	s_barrier
	ds_read2_b64 v[42:45], v34 offset1:32
	ds_read_b128 v[46:49], v31 offset:32
	v_pk_fma_f16 v22, v77, v2, v22 op_sel_hi:[1,0,1]
	v_pk_fma_f16 v24, v79, v2, v24 op_sel_hi:[1,0,1]
	;; [unrolled: 1-line block ×4, first 2 shown]
	v_pk_fma_f16 v0, v83, v2, v0 op_sel:[0,1,0]
	v_pk_fma_f16 v60, v84, v3, v1 op_sel_hi:[1,0,1]
	v_pk_fma_f16 v26, v84, v3, v26 op_sel:[0,1,0]
	v_pk_fma_f16 v22, v85, v3, v22 op_sel_hi:[1,0,1]
	;; [unrolled: 2-line block ×3, first 2 shown]
	v_pk_fma_f16 v50, v90, v3, v50 op_sel_hi:[1,0,1]
	v_pk_fma_f16 v55, v91, v3, v55 op_sel_hi:[1,0,1]
	v_pk_fma_f16 v69, v91, v3, v0 op_sel:[0,1,0]
	ds_read2_b64 v[56:59], v34 offset0:64 offset1:96
	ds_read_b128 v[0:3], v31 offset:48
	s_waitcnt lgkmcnt(2)
	v_pk_fma_f16 v60, v42, v46, v60 op_sel_hi:[1,0,1]
	v_pk_fma_f16 v26, v42, v46, v26 op_sel:[0,1,0]
	v_pk_fma_f16 v22, v43, v46, v22 op_sel_hi:[1,0,1]
	v_pk_fma_f16 v27, v43, v46, v27 op_sel:[0,1,0]
	;; [unrolled: 2-line block ×4, first 2 shown]
	ds_read2_b64 v[42:45], v34 offset0:128 offset1:160
	s_waitcnt lgkmcnt(2)
	v_pk_fma_f16 v64, v56, v46, v64 op_sel_hi:[1,0,1]
	v_pk_fma_f16 v65, v56, v46, v65 op_sel:[0,1,0]
	v_pk_fma_f16 v66, v57, v46, v66 op_sel_hi:[1,0,1]
	v_pk_fma_f16 v67, v57, v46, v67 op_sel:[0,1,0]
	;; [unrolled: 2-line block ×4, first 2 shown]
	ds_read2_b64 v[56:59], v34 offset0:192 offset1:224
	s_waitcnt lgkmcnt(1)
	v_pk_fma_f16 v60, v42, v47, v60 op_sel_hi:[1,0,1]
	v_pk_fma_f16 v26, v42, v47, v26 op_sel:[0,1,0]
	v_pk_fma_f16 v22, v43, v47, v22 op_sel_hi:[1,0,1]
	v_pk_fma_f16 v27, v43, v47, v27 op_sel:[0,1,0]
	;; [unrolled: 2-line block ×4, first 2 shown]
	ds_read2_b64 v[42:45], v20 offset1:32
	s_waitcnt lgkmcnt(1)
	v_pk_fma_f16 v64, v56, v47, v64 op_sel_hi:[1,0,1]
	v_pk_fma_f16 v65, v56, v47, v65 op_sel:[0,1,0]
	v_pk_fma_f16 v66, v57, v47, v66 op_sel_hi:[1,0,1]
	v_pk_fma_f16 v67, v57, v47, v67 op_sel:[0,1,0]
	;; [unrolled: 2-line block ×4, first 2 shown]
	ds_read2_b64 v[56:59], v20 offset0:64 offset1:96
	s_or_b32 s10, s6, 16
	s_mul_hi_i32 s11, s10, s14
	s_mul_i32 s10, s10, s14
	s_lshl_b64 s[10:11], s[10:11], 2
	s_waitcnt lgkmcnt(1)
	v_pk_fma_f16 v100, v42, v48, v26 op_sel:[0,1,0]
	v_pk_fma_f16 v101, v43, v48, v27 op_sel:[0,1,0]
	v_mov_b32_e32 v27, s11
	v_add_co_u32_e32 v26, vcc, s10, v35
	v_addc_co_u32_e32 v27, vcc, v36, v27, vcc
	v_pk_fma_f16 v47, v42, v48, v60 op_sel_hi:[1,0,1]
	v_pk_fma_f16 v22, v43, v48, v22 op_sel_hi:[1,0,1]
	;; [unrolled: 1-line block ×3, first 2 shown]
	v_pk_fma_f16 v103, v44, v48, v62 op_sel:[0,1,0]
	v_pk_fma_f16 v24, v45, v48, v24 op_sel_hi:[1,0,1]
	v_pk_fma_f16 v104, v45, v48, v63 op_sel:[0,1,0]
	s_waitcnt lgkmcnt(0)
	v_pk_fma_f16 v105, v56, v48, v64 op_sel_hi:[1,0,1]
	v_pk_fma_f16 v106, v56, v48, v65 op_sel:[0,1,0]
	v_pk_fma_f16 v107, v57, v48, v66 op_sel_hi:[1,0,1]
	v_pk_fma_f16 v108, v57, v48, v67 op_sel:[0,1,0]
	;; [unrolled: 2-line block ×4, first 2 shown]
	ds_read2_b64 v[42:45], v20 offset0:128 offset1:160
	ds_read2_b64 v[56:59], v20 offset0:192 offset1:224
	ds_read2_b64 v[60:63], v18 offset1:32
	ds_read2_b64 v[64:67], v18 offset0:64 offset1:96
	ds_read2_b64 v[68:71], v18 offset0:128 offset1:160
	;; [unrolled: 1-line block ×3, first 2 shown]
	ds_read2_b64 v[76:79], v16 offset1:32
	ds_read2_b64 v[80:83], v16 offset0:64 offset1:96
	ds_read2_b64 v[84:87], v16 offset0:128 offset1:160
	;; [unrolled: 1-line block ×3, first 2 shown]
	s_waitcnt lgkmcnt(0)
	s_barrier
	global_load_dwordx4 v[92:95], v[26:27], off
	global_load_dwordx4 v[96:99], v[26:27], off offset:512
	v_pk_fma_f16 v26, v42, v49, v47 op_sel_hi:[1,0,1]
	v_pk_fma_f16 v27, v42, v49, v100 op_sel:[0,1,0]
	v_pk_fma_f16 v22, v43, v49, v22 op_sel_hi:[1,0,1]
	v_pk_fma_f16 v42, v43, v49, v101 op_sel:[0,1,0]
	;; [unrolled: 2-line block ×9, first 2 shown]
	v_pk_fma_f16 v42, v61, v0, v42 op_sel:[0,1,0]
	v_pk_fma_f16 v43, v62, v0, v43 op_sel_hi:[1,0,1]
	v_pk_fma_f16 v44, v62, v0, v44 op_sel:[0,1,0]
	v_pk_fma_f16 v45, v63, v0, v45 op_sel:[0,1,0]
	v_pk_fma_f16 v47, v64, v0, v47 op_sel_hi:[1,0,1]
	v_pk_fma_f16 v48, v64, v0, v48 op_sel:[0,1,0]
	v_pk_fma_f16 v49, v65, v0, v56 op_sel_hi:[1,0,1]
	;; [unrolled: 2-line block ×3, first 2 shown]
	v_pk_fma_f16 v22, v61, v0, v22 op_sel_hi:[1,0,1]
	v_pk_fma_f16 v24, v63, v0, v24 op_sel_hi:[1,0,1]
	v_pk_fma_f16 v57, v66, v0, v58 op_sel:[0,1,0]
	v_pk_fma_f16 v55, v67, v0, v55 op_sel_hi:[1,0,1]
	v_pk_fma_f16 v0, v67, v0, v46 op_sel:[0,1,0]
	v_pk_fma_f16 v26, v68, v1, v26 op_sel_hi:[1,0,1]
	v_pk_fma_f16 v27, v68, v1, v27 op_sel:[0,1,0]
	v_pk_fma_f16 v42, v69, v1, v42 op_sel:[0,1,0]
	v_pk_fma_f16 v43, v70, v1, v43 op_sel_hi:[1,0,1]
	v_pk_fma_f16 v44, v70, v1, v44 op_sel:[0,1,0]
	v_pk_fma_f16 v45, v71, v1, v45 op_sel:[0,1,0]
	v_pk_fma_f16 v46, v72, v1, v47 op_sel_hi:[1,0,1]
	v_pk_fma_f16 v47, v72, v1, v48 op_sel:[0,1,0]
	v_pk_fma_f16 v48, v73, v1, v49 op_sel_hi:[1,0,1]
	;; [unrolled: 2-line block ×3, first 2 shown]
	v_pk_fma_f16 v22, v69, v1, v22 op_sel_hi:[1,0,1]
	v_pk_fma_f16 v24, v71, v1, v24 op_sel_hi:[1,0,1]
	v_pk_fma_f16 v56, v74, v1, v57 op_sel:[0,1,0]
	v_pk_fma_f16 v55, v75, v1, v55 op_sel_hi:[1,0,1]
	v_pk_fma_f16 v0, v75, v1, v0 op_sel:[0,1,0]
	;; [unrolled: 2-line block ×3, first 2 shown]
	v_pk_fma_f16 v27, v77, v2, v42 op_sel:[0,1,0]
	v_pk_fma_f16 v42, v78, v2, v43 op_sel_hi:[1,0,1]
	v_pk_fma_f16 v43, v78, v2, v44 op_sel:[0,1,0]
	v_pk_fma_f16 v44, v79, v2, v45 op_sel:[0,1,0]
	v_pk_fma_f16 v45, v80, v2, v46 op_sel_hi:[1,0,1]
	v_pk_fma_f16 v46, v80, v2, v47 op_sel:[0,1,0]
	v_pk_fma_f16 v47, v81, v2, v48 op_sel_hi:[1,0,1]
	;; [unrolled: 2-line block ×3, first 2 shown]
	v_pk_fma_f16 v61, v86, v3, v42 op_sel_hi:[1,0,1]
	v_pk_fma_f16 v62, v86, v3, v43 op_sel:[0,1,0]
	v_pk_fma_f16 v63, v87, v3, v44 op_sel:[0,1,0]
	v_pk_fma_f16 v64, v88, v3, v45 op_sel_hi:[1,0,1]
	v_pk_fma_f16 v65, v88, v3, v46 op_sel:[0,1,0]
	v_pk_fma_f16 v66, v89, v3, v47 op_sel_hi:[1,0,1]
	;; [unrolled: 2-line block ×3, first 2 shown]
	s_waitcnt vmcnt(1)
	ds_write_b128 v32, v[92:95]
	s_waitcnt vmcnt(0)
	ds_write_b128 v33, v[96:99]
	s_waitcnt lgkmcnt(0)
	s_barrier
	ds_read2_b64 v[42:45], v34 offset1:32
	ds_read_b128 v[46:49], v31 offset:64
	v_pk_fma_f16 v22, v77, v2, v22 op_sel_hi:[1,0,1]
	v_pk_fma_f16 v24, v79, v2, v24 op_sel_hi:[1,0,1]
	v_pk_fma_f16 v50, v82, v2, v56 op_sel:[0,1,0]
	v_pk_fma_f16 v55, v83, v2, v55 op_sel_hi:[1,0,1]
	v_pk_fma_f16 v0, v83, v2, v0 op_sel:[0,1,0]
	;; [unrolled: 2-line block ×6, first 2 shown]
	ds_read2_b64 v[56:59], v34 offset0:64 offset1:96
	ds_read_b128 v[0:3], v31 offset:80
	s_waitcnt lgkmcnt(2)
	v_pk_fma_f16 v60, v42, v46, v60 op_sel_hi:[1,0,1]
	v_pk_fma_f16 v26, v42, v46, v26 op_sel:[0,1,0]
	v_pk_fma_f16 v22, v43, v46, v22 op_sel_hi:[1,0,1]
	v_pk_fma_f16 v27, v43, v46, v27 op_sel:[0,1,0]
	v_pk_fma_f16 v61, v44, v46, v61 op_sel_hi:[1,0,1]
	v_pk_fma_f16 v62, v44, v46, v62 op_sel:[0,1,0]
	v_pk_fma_f16 v24, v45, v46, v24 op_sel_hi:[1,0,1]
	v_pk_fma_f16 v63, v45, v46, v63 op_sel:[0,1,0]
	ds_read2_b64 v[42:45], v34 offset0:128 offset1:160
	s_waitcnt lgkmcnt(2)
	v_pk_fma_f16 v64, v56, v46, v64 op_sel_hi:[1,0,1]
	v_pk_fma_f16 v65, v56, v46, v65 op_sel:[0,1,0]
	v_pk_fma_f16 v66, v57, v46, v66 op_sel_hi:[1,0,1]
	v_pk_fma_f16 v67, v57, v46, v67 op_sel:[0,1,0]
	;; [unrolled: 2-line block ×4, first 2 shown]
	ds_read2_b64 v[56:59], v34 offset0:192 offset1:224
	s_waitcnt lgkmcnt(1)
	v_pk_fma_f16 v60, v42, v47, v60 op_sel_hi:[1,0,1]
	v_pk_fma_f16 v26, v42, v47, v26 op_sel:[0,1,0]
	v_pk_fma_f16 v22, v43, v47, v22 op_sel_hi:[1,0,1]
	v_pk_fma_f16 v27, v43, v47, v27 op_sel:[0,1,0]
	;; [unrolled: 2-line block ×4, first 2 shown]
	ds_read2_b64 v[42:45], v20 offset1:32
	s_waitcnt lgkmcnt(1)
	v_pk_fma_f16 v64, v56, v47, v64 op_sel_hi:[1,0,1]
	v_pk_fma_f16 v65, v56, v47, v65 op_sel:[0,1,0]
	v_pk_fma_f16 v66, v57, v47, v66 op_sel_hi:[1,0,1]
	v_pk_fma_f16 v67, v57, v47, v67 op_sel:[0,1,0]
	;; [unrolled: 2-line block ×4, first 2 shown]
	ds_read2_b64 v[56:59], v20 offset0:64 offset1:96
	s_or_b32 s10, s6, 24
	s_mul_hi_i32 s11, s10, s14
	s_mul_i32 s10, s10, s14
	s_lshl_b64 s[10:11], s[10:11], 2
	s_waitcnt lgkmcnt(1)
	v_pk_fma_f16 v100, v42, v48, v26 op_sel:[0,1,0]
	v_pk_fma_f16 v101, v43, v48, v27 op_sel:[0,1,0]
	v_mov_b32_e32 v27, s11
	v_add_co_u32_e32 v26, vcc, s10, v35
	v_addc_co_u32_e32 v27, vcc, v36, v27, vcc
	v_pk_fma_f16 v47, v42, v48, v60 op_sel_hi:[1,0,1]
	v_pk_fma_f16 v22, v43, v48, v22 op_sel_hi:[1,0,1]
	v_pk_fma_f16 v102, v44, v48, v61 op_sel_hi:[1,0,1]
	v_pk_fma_f16 v103, v44, v48, v62 op_sel:[0,1,0]
	v_pk_fma_f16 v24, v45, v48, v24 op_sel_hi:[1,0,1]
	v_pk_fma_f16 v104, v45, v48, v63 op_sel:[0,1,0]
	s_waitcnt lgkmcnt(0)
	v_pk_fma_f16 v105, v56, v48, v64 op_sel_hi:[1,0,1]
	v_pk_fma_f16 v106, v56, v48, v65 op_sel:[0,1,0]
	v_pk_fma_f16 v107, v57, v48, v66 op_sel_hi:[1,0,1]
	v_pk_fma_f16 v108, v57, v48, v67 op_sel:[0,1,0]
	;; [unrolled: 2-line block ×4, first 2 shown]
	ds_read2_b64 v[42:45], v20 offset0:128 offset1:160
	ds_read2_b64 v[56:59], v20 offset0:192 offset1:224
	ds_read2_b64 v[60:63], v18 offset1:32
	ds_read2_b64 v[64:67], v18 offset0:64 offset1:96
	ds_read2_b64 v[68:71], v18 offset0:128 offset1:160
	ds_read2_b64 v[72:75], v18 offset0:192 offset1:224
	ds_read2_b64 v[76:79], v16 offset1:32
	ds_read2_b64 v[80:83], v16 offset0:64 offset1:96
	ds_read2_b64 v[84:87], v16 offset0:128 offset1:160
	;; [unrolled: 1-line block ×3, first 2 shown]
	s_waitcnt lgkmcnt(0)
	s_barrier
	global_load_dwordx4 v[92:95], v[26:27], off
	global_load_dwordx4 v[96:99], v[26:27], off offset:512
	v_pk_fma_f16 v26, v42, v49, v47 op_sel_hi:[1,0,1]
	v_pk_fma_f16 v27, v42, v49, v100 op_sel:[0,1,0]
	v_pk_fma_f16 v22, v43, v49, v22 op_sel_hi:[1,0,1]
	v_pk_fma_f16 v42, v43, v49, v101 op_sel:[0,1,0]
	;; [unrolled: 2-line block ×9, first 2 shown]
	v_pk_fma_f16 v42, v61, v0, v42 op_sel:[0,1,0]
	v_pk_fma_f16 v43, v62, v0, v43 op_sel_hi:[1,0,1]
	v_pk_fma_f16 v44, v62, v0, v44 op_sel:[0,1,0]
	v_pk_fma_f16 v45, v63, v0, v45 op_sel:[0,1,0]
	v_pk_fma_f16 v47, v64, v0, v47 op_sel_hi:[1,0,1]
	v_pk_fma_f16 v48, v64, v0, v48 op_sel:[0,1,0]
	v_pk_fma_f16 v49, v65, v0, v56 op_sel_hi:[1,0,1]
	;; [unrolled: 2-line block ×3, first 2 shown]
	v_pk_fma_f16 v22, v61, v0, v22 op_sel_hi:[1,0,1]
	v_pk_fma_f16 v24, v63, v0, v24 op_sel_hi:[1,0,1]
	v_pk_fma_f16 v50, v66, v0, v50 op_sel:[0,1,0]
	v_pk_fma_f16 v55, v67, v0, v55 op_sel_hi:[1,0,1]
	v_pk_fma_f16 v0, v67, v0, v46 op_sel:[0,1,0]
	;; [unrolled: 2-line block ×3, first 2 shown]
	v_pk_fma_f16 v42, v69, v1, v42 op_sel:[0,1,0]
	v_pk_fma_f16 v43, v70, v1, v43 op_sel_hi:[1,0,1]
	v_pk_fma_f16 v44, v70, v1, v44 op_sel:[0,1,0]
	v_pk_fma_f16 v45, v71, v1, v45 op_sel:[0,1,0]
	v_pk_fma_f16 v46, v72, v1, v47 op_sel_hi:[1,0,1]
	v_pk_fma_f16 v47, v72, v1, v48 op_sel:[0,1,0]
	v_pk_fma_f16 v48, v73, v1, v49 op_sel_hi:[1,0,1]
	;; [unrolled: 2-line block ×3, first 2 shown]
	v_pk_fma_f16 v22, v69, v1, v22 op_sel_hi:[1,0,1]
	v_pk_fma_f16 v24, v71, v1, v24 op_sel_hi:[1,0,1]
	v_pk_fma_f16 v50, v74, v1, v50 op_sel:[0,1,0]
	v_pk_fma_f16 v55, v75, v1, v55 op_sel_hi:[1,0,1]
	v_pk_fma_f16 v0, v75, v1, v0 op_sel:[0,1,0]
	;; [unrolled: 2-line block ×3, first 2 shown]
	v_pk_fma_f16 v27, v77, v2, v42 op_sel:[0,1,0]
	v_pk_fma_f16 v42, v78, v2, v43 op_sel_hi:[1,0,1]
	v_pk_fma_f16 v43, v78, v2, v44 op_sel:[0,1,0]
	v_pk_fma_f16 v44, v79, v2, v45 op_sel:[0,1,0]
	v_pk_fma_f16 v45, v80, v2, v46 op_sel_hi:[1,0,1]
	v_pk_fma_f16 v46, v80, v2, v47 op_sel:[0,1,0]
	v_pk_fma_f16 v47, v81, v2, v48 op_sel_hi:[1,0,1]
	;; [unrolled: 2-line block ×3, first 2 shown]
	v_pk_fma_f16 v61, v86, v3, v42 op_sel_hi:[1,0,1]
	v_pk_fma_f16 v62, v86, v3, v43 op_sel:[0,1,0]
	v_pk_fma_f16 v63, v87, v3, v44 op_sel:[0,1,0]
	v_pk_fma_f16 v64, v88, v3, v45 op_sel_hi:[1,0,1]
	v_pk_fma_f16 v65, v88, v3, v46 op_sel:[0,1,0]
	v_pk_fma_f16 v66, v89, v3, v47 op_sel_hi:[1,0,1]
	;; [unrolled: 2-line block ×3, first 2 shown]
	s_waitcnt vmcnt(1)
	ds_write_b128 v32, v[92:95]
	s_waitcnt vmcnt(0)
	ds_write_b128 v33, v[96:99]
	s_waitcnt lgkmcnt(0)
	s_barrier
	ds_read2_b64 v[42:45], v34 offset1:32
	ds_read_b128 v[46:49], v31 offset:96
	v_pk_fma_f16 v22, v77, v2, v22 op_sel_hi:[1,0,1]
	v_pk_fma_f16 v24, v79, v2, v24 op_sel_hi:[1,0,1]
	v_pk_fma_f16 v50, v82, v2, v50 op_sel:[0,1,0]
	v_pk_fma_f16 v55, v83, v2, v55 op_sel_hi:[1,0,1]
	v_pk_fma_f16 v0, v83, v2, v0 op_sel:[0,1,0]
	;; [unrolled: 2-line block ×6, first 2 shown]
	ds_read2_b64 v[56:59], v34 offset0:64 offset1:96
	ds_read_b128 v[0:3], v31 offset:112
	s_waitcnt lgkmcnt(2)
	v_pk_fma_f16 v60, v42, v46, v60 op_sel_hi:[1,0,1]
	v_pk_fma_f16 v26, v42, v46, v26 op_sel:[0,1,0]
	v_pk_fma_f16 v22, v43, v46, v22 op_sel_hi:[1,0,1]
	v_pk_fma_f16 v27, v43, v46, v27 op_sel:[0,1,0]
	;; [unrolled: 2-line block ×4, first 2 shown]
	ds_read2_b64 v[42:45], v34 offset0:128 offset1:160
	s_waitcnt lgkmcnt(2)
	v_pk_fma_f16 v64, v56, v46, v64 op_sel_hi:[1,0,1]
	v_pk_fma_f16 v65, v56, v46, v65 op_sel:[0,1,0]
	v_pk_fma_f16 v66, v57, v46, v66 op_sel_hi:[1,0,1]
	v_pk_fma_f16 v67, v57, v46, v67 op_sel:[0,1,0]
	;; [unrolled: 2-line block ×4, first 2 shown]
	ds_read2_b64 v[56:59], v34 offset0:192 offset1:224
	s_waitcnt lgkmcnt(1)
	v_pk_fma_f16 v60, v42, v47, v60 op_sel_hi:[1,0,1]
	v_pk_fma_f16 v26, v42, v47, v26 op_sel:[0,1,0]
	v_pk_fma_f16 v22, v43, v47, v22 op_sel_hi:[1,0,1]
	v_pk_fma_f16 v27, v43, v47, v27 op_sel:[0,1,0]
	;; [unrolled: 2-line block ×4, first 2 shown]
	ds_read2_b64 v[42:45], v20 offset1:32
	s_waitcnt lgkmcnt(1)
	v_pk_fma_f16 v64, v56, v47, v64 op_sel_hi:[1,0,1]
	v_pk_fma_f16 v65, v56, v47, v65 op_sel:[0,1,0]
	v_pk_fma_f16 v66, v57, v47, v66 op_sel_hi:[1,0,1]
	v_pk_fma_f16 v67, v57, v47, v67 op_sel:[0,1,0]
	;; [unrolled: 2-line block ×4, first 2 shown]
	ds_read2_b64 v[56:59], v20 offset0:64 offset1:96
	s_or_b32 s10, s6, 32
	s_mul_hi_i32 s11, s10, s14
	s_mul_i32 s10, s10, s14
	s_lshl_b64 s[10:11], s[10:11], 2
	s_waitcnt lgkmcnt(1)
	v_pk_fma_f16 v100, v42, v48, v26 op_sel:[0,1,0]
	v_pk_fma_f16 v101, v43, v48, v27 op_sel:[0,1,0]
	v_mov_b32_e32 v27, s11
	v_add_co_u32_e32 v26, vcc, s10, v35
	v_addc_co_u32_e32 v27, vcc, v36, v27, vcc
	v_pk_fma_f16 v47, v42, v48, v60 op_sel_hi:[1,0,1]
	v_pk_fma_f16 v22, v43, v48, v22 op_sel_hi:[1,0,1]
	;; [unrolled: 1-line block ×3, first 2 shown]
	v_pk_fma_f16 v103, v44, v48, v62 op_sel:[0,1,0]
	v_pk_fma_f16 v24, v45, v48, v24 op_sel_hi:[1,0,1]
	v_pk_fma_f16 v104, v45, v48, v63 op_sel:[0,1,0]
	s_waitcnt lgkmcnt(0)
	v_pk_fma_f16 v105, v56, v48, v64 op_sel_hi:[1,0,1]
	v_pk_fma_f16 v106, v56, v48, v65 op_sel:[0,1,0]
	v_pk_fma_f16 v107, v57, v48, v66 op_sel_hi:[1,0,1]
	v_pk_fma_f16 v108, v57, v48, v67 op_sel:[0,1,0]
	;; [unrolled: 2-line block ×4, first 2 shown]
	ds_read2_b64 v[42:45], v20 offset0:128 offset1:160
	ds_read2_b64 v[56:59], v20 offset0:192 offset1:224
	ds_read2_b64 v[60:63], v18 offset1:32
	ds_read2_b64 v[64:67], v18 offset0:64 offset1:96
	ds_read2_b64 v[68:71], v18 offset0:128 offset1:160
	;; [unrolled: 1-line block ×3, first 2 shown]
	ds_read2_b64 v[76:79], v16 offset1:32
	ds_read2_b64 v[80:83], v16 offset0:64 offset1:96
	ds_read2_b64 v[84:87], v16 offset0:128 offset1:160
	;; [unrolled: 1-line block ×3, first 2 shown]
	s_waitcnt lgkmcnt(0)
	s_barrier
	global_load_dwordx4 v[92:95], v[26:27], off
	global_load_dwordx4 v[96:99], v[26:27], off offset:512
	v_pk_fma_f16 v26, v42, v49, v47 op_sel_hi:[1,0,1]
	v_pk_fma_f16 v27, v42, v49, v100 op_sel:[0,1,0]
	v_pk_fma_f16 v22, v43, v49, v22 op_sel_hi:[1,0,1]
	v_pk_fma_f16 v42, v43, v49, v101 op_sel:[0,1,0]
	;; [unrolled: 2-line block ×9, first 2 shown]
	v_pk_fma_f16 v42, v61, v0, v42 op_sel:[0,1,0]
	v_pk_fma_f16 v43, v62, v0, v43 op_sel_hi:[1,0,1]
	v_pk_fma_f16 v44, v62, v0, v44 op_sel:[0,1,0]
	v_pk_fma_f16 v45, v63, v0, v45 op_sel:[0,1,0]
	v_pk_fma_f16 v47, v64, v0, v47 op_sel_hi:[1,0,1]
	v_pk_fma_f16 v48, v64, v0, v48 op_sel:[0,1,0]
	v_pk_fma_f16 v49, v65, v0, v56 op_sel_hi:[1,0,1]
	;; [unrolled: 2-line block ×3, first 2 shown]
	v_pk_fma_f16 v22, v61, v0, v22 op_sel_hi:[1,0,1]
	v_pk_fma_f16 v24, v63, v0, v24 op_sel_hi:[1,0,1]
	v_pk_fma_f16 v50, v66, v0, v50 op_sel:[0,1,0]
	v_pk_fma_f16 v55, v67, v0, v55 op_sel_hi:[1,0,1]
	v_pk_fma_f16 v0, v67, v0, v46 op_sel:[0,1,0]
	;; [unrolled: 2-line block ×3, first 2 shown]
	v_pk_fma_f16 v42, v69, v1, v42 op_sel:[0,1,0]
	v_pk_fma_f16 v43, v70, v1, v43 op_sel_hi:[1,0,1]
	v_pk_fma_f16 v44, v70, v1, v44 op_sel:[0,1,0]
	v_pk_fma_f16 v45, v71, v1, v45 op_sel:[0,1,0]
	v_pk_fma_f16 v46, v72, v1, v47 op_sel_hi:[1,0,1]
	v_pk_fma_f16 v47, v72, v1, v48 op_sel:[0,1,0]
	v_pk_fma_f16 v48, v73, v1, v49 op_sel_hi:[1,0,1]
	v_pk_fma_f16 v49, v73, v1, v56 op_sel:[0,1,0]
	v_pk_fma_f16 v56, v74, v1, v57 op_sel_hi:[1,0,1]
	v_pk_fma_f16 v22, v69, v1, v22 op_sel_hi:[1,0,1]
	v_pk_fma_f16 v24, v71, v1, v24 op_sel_hi:[1,0,1]
	v_pk_fma_f16 v50, v74, v1, v50 op_sel:[0,1,0]
	v_pk_fma_f16 v55, v75, v1, v55 op_sel_hi:[1,0,1]
	v_pk_fma_f16 v0, v75, v1, v0 op_sel:[0,1,0]
	;; [unrolled: 2-line block ×3, first 2 shown]
	v_pk_fma_f16 v27, v77, v2, v42 op_sel:[0,1,0]
	v_pk_fma_f16 v42, v78, v2, v43 op_sel_hi:[1,0,1]
	v_pk_fma_f16 v43, v78, v2, v44 op_sel:[0,1,0]
	v_pk_fma_f16 v44, v79, v2, v45 op_sel:[0,1,0]
	v_pk_fma_f16 v45, v80, v2, v46 op_sel_hi:[1,0,1]
	v_pk_fma_f16 v46, v80, v2, v47 op_sel:[0,1,0]
	v_pk_fma_f16 v47, v81, v2, v48 op_sel_hi:[1,0,1]
	v_pk_fma_f16 v48, v81, v2, v49 op_sel:[0,1,0]
	v_pk_fma_f16 v49, v82, v2, v56 op_sel_hi:[1,0,1]
	v_pk_fma_f16 v61, v86, v3, v42 op_sel_hi:[1,0,1]
	v_pk_fma_f16 v62, v86, v3, v43 op_sel:[0,1,0]
	v_pk_fma_f16 v63, v87, v3, v44 op_sel:[0,1,0]
	v_pk_fma_f16 v64, v88, v3, v45 op_sel_hi:[1,0,1]
	v_pk_fma_f16 v65, v88, v3, v46 op_sel:[0,1,0]
	v_pk_fma_f16 v66, v89, v3, v47 op_sel_hi:[1,0,1]
	;; [unrolled: 2-line block ×3, first 2 shown]
	s_waitcnt vmcnt(1)
	ds_write_b128 v32, v[92:95]
	s_waitcnt vmcnt(0)
	ds_write_b128 v33, v[96:99]
	s_waitcnt lgkmcnt(0)
	s_barrier
	ds_read2_b64 v[42:45], v34 offset1:32
	ds_read_b128 v[46:49], v31 offset:128
	v_pk_fma_f16 v22, v77, v2, v22 op_sel_hi:[1,0,1]
	v_pk_fma_f16 v24, v79, v2, v24 op_sel_hi:[1,0,1]
	v_pk_fma_f16 v50, v82, v2, v50 op_sel:[0,1,0]
	v_pk_fma_f16 v55, v83, v2, v55 op_sel_hi:[1,0,1]
	v_pk_fma_f16 v0, v83, v2, v0 op_sel:[0,1,0]
	v_pk_fma_f16 v60, v84, v3, v1 op_sel_hi:[1,0,1]
	v_pk_fma_f16 v26, v84, v3, v26 op_sel:[0,1,0]
	v_pk_fma_f16 v22, v85, v3, v22 op_sel_hi:[1,0,1]
	v_pk_fma_f16 v27, v85, v3, v27 op_sel:[0,1,0]
	v_pk_fma_f16 v24, v87, v3, v24 op_sel_hi:[1,0,1]
	v_pk_fma_f16 v50, v90, v3, v50 op_sel:[0,1,0]
	v_pk_fma_f16 v55, v91, v3, v55 op_sel_hi:[1,0,1]
	v_pk_fma_f16 v69, v91, v3, v0 op_sel:[0,1,0]
	ds_read2_b64 v[56:59], v34 offset0:64 offset1:96
	ds_read_b128 v[0:3], v31 offset:144
	s_waitcnt lgkmcnt(2)
	v_pk_fma_f16 v60, v42, v46, v60 op_sel_hi:[1,0,1]
	v_pk_fma_f16 v26, v42, v46, v26 op_sel:[0,1,0]
	v_pk_fma_f16 v22, v43, v46, v22 op_sel_hi:[1,0,1]
	v_pk_fma_f16 v27, v43, v46, v27 op_sel:[0,1,0]
	;; [unrolled: 2-line block ×4, first 2 shown]
	ds_read2_b64 v[42:45], v34 offset0:128 offset1:160
	s_waitcnt lgkmcnt(2)
	v_pk_fma_f16 v64, v56, v46, v64 op_sel_hi:[1,0,1]
	v_pk_fma_f16 v65, v56, v46, v65 op_sel:[0,1,0]
	v_pk_fma_f16 v66, v57, v46, v66 op_sel_hi:[1,0,1]
	v_pk_fma_f16 v67, v57, v46, v67 op_sel:[0,1,0]
	;; [unrolled: 2-line block ×4, first 2 shown]
	ds_read2_b64 v[56:59], v34 offset0:192 offset1:224
	s_waitcnt lgkmcnt(1)
	v_pk_fma_f16 v60, v42, v47, v60 op_sel_hi:[1,0,1]
	v_pk_fma_f16 v26, v42, v47, v26 op_sel:[0,1,0]
	v_pk_fma_f16 v22, v43, v47, v22 op_sel_hi:[1,0,1]
	v_pk_fma_f16 v27, v43, v47, v27 op_sel:[0,1,0]
	;; [unrolled: 2-line block ×4, first 2 shown]
	ds_read2_b64 v[42:45], v20 offset1:32
	s_waitcnt lgkmcnt(1)
	v_pk_fma_f16 v64, v56, v47, v64 op_sel_hi:[1,0,1]
	v_pk_fma_f16 v65, v56, v47, v65 op_sel:[0,1,0]
	v_pk_fma_f16 v66, v57, v47, v66 op_sel_hi:[1,0,1]
	v_pk_fma_f16 v67, v57, v47, v67 op_sel:[0,1,0]
	;; [unrolled: 2-line block ×4, first 2 shown]
	ds_read2_b64 v[56:59], v20 offset0:64 offset1:96
	s_or_b32 s10, s6, 40
	s_mul_hi_i32 s11, s10, s14
	s_mul_i32 s10, s10, s14
	s_lshl_b64 s[10:11], s[10:11], 2
	s_waitcnt lgkmcnt(1)
	v_pk_fma_f16 v100, v42, v48, v26 op_sel:[0,1,0]
	v_pk_fma_f16 v101, v43, v48, v27 op_sel:[0,1,0]
	v_mov_b32_e32 v27, s11
	v_add_co_u32_e32 v26, vcc, s10, v35
	v_addc_co_u32_e32 v27, vcc, v36, v27, vcc
	v_pk_fma_f16 v47, v42, v48, v60 op_sel_hi:[1,0,1]
	v_pk_fma_f16 v22, v43, v48, v22 op_sel_hi:[1,0,1]
	;; [unrolled: 1-line block ×3, first 2 shown]
	v_pk_fma_f16 v103, v44, v48, v62 op_sel:[0,1,0]
	v_pk_fma_f16 v24, v45, v48, v24 op_sel_hi:[1,0,1]
	v_pk_fma_f16 v104, v45, v48, v63 op_sel:[0,1,0]
	s_waitcnt lgkmcnt(0)
	v_pk_fma_f16 v105, v56, v48, v64 op_sel_hi:[1,0,1]
	v_pk_fma_f16 v106, v56, v48, v65 op_sel:[0,1,0]
	v_pk_fma_f16 v107, v57, v48, v66 op_sel_hi:[1,0,1]
	v_pk_fma_f16 v108, v57, v48, v67 op_sel:[0,1,0]
	;; [unrolled: 2-line block ×4, first 2 shown]
	ds_read2_b64 v[42:45], v20 offset0:128 offset1:160
	ds_read2_b64 v[56:59], v20 offset0:192 offset1:224
	ds_read2_b64 v[60:63], v18 offset1:32
	ds_read2_b64 v[64:67], v18 offset0:64 offset1:96
	ds_read2_b64 v[68:71], v18 offset0:128 offset1:160
	;; [unrolled: 1-line block ×3, first 2 shown]
	ds_read2_b64 v[76:79], v16 offset1:32
	ds_read2_b64 v[80:83], v16 offset0:64 offset1:96
	ds_read2_b64 v[84:87], v16 offset0:128 offset1:160
	;; [unrolled: 1-line block ×3, first 2 shown]
	s_waitcnt lgkmcnt(0)
	s_barrier
	global_load_dwordx4 v[92:95], v[26:27], off
	global_load_dwordx4 v[96:99], v[26:27], off offset:512
	v_pk_fma_f16 v26, v42, v49, v47 op_sel_hi:[1,0,1]
	v_pk_fma_f16 v27, v42, v49, v100 op_sel:[0,1,0]
	v_pk_fma_f16 v22, v43, v49, v22 op_sel_hi:[1,0,1]
	v_pk_fma_f16 v42, v43, v49, v101 op_sel:[0,1,0]
	;; [unrolled: 2-line block ×9, first 2 shown]
	v_pk_fma_f16 v42, v61, v0, v42 op_sel:[0,1,0]
	v_pk_fma_f16 v43, v62, v0, v43 op_sel_hi:[1,0,1]
	v_pk_fma_f16 v44, v62, v0, v44 op_sel:[0,1,0]
	v_pk_fma_f16 v45, v63, v0, v45 op_sel:[0,1,0]
	v_pk_fma_f16 v47, v64, v0, v47 op_sel_hi:[1,0,1]
	v_pk_fma_f16 v48, v64, v0, v48 op_sel:[0,1,0]
	v_pk_fma_f16 v49, v65, v0, v56 op_sel_hi:[1,0,1]
	;; [unrolled: 2-line block ×3, first 2 shown]
	v_pk_fma_f16 v22, v61, v0, v22 op_sel_hi:[1,0,1]
	v_pk_fma_f16 v24, v63, v0, v24 op_sel_hi:[1,0,1]
	v_pk_fma_f16 v50, v66, v0, v50 op_sel:[0,1,0]
	v_pk_fma_f16 v55, v67, v0, v55 op_sel_hi:[1,0,1]
	v_pk_fma_f16 v0, v67, v0, v46 op_sel:[0,1,0]
	;; [unrolled: 2-line block ×3, first 2 shown]
	v_pk_fma_f16 v42, v69, v1, v42 op_sel:[0,1,0]
	v_pk_fma_f16 v43, v70, v1, v43 op_sel_hi:[1,0,1]
	v_pk_fma_f16 v44, v70, v1, v44 op_sel:[0,1,0]
	v_pk_fma_f16 v45, v71, v1, v45 op_sel:[0,1,0]
	v_pk_fma_f16 v46, v72, v1, v47 op_sel_hi:[1,0,1]
	v_pk_fma_f16 v47, v72, v1, v48 op_sel:[0,1,0]
	v_pk_fma_f16 v48, v73, v1, v49 op_sel_hi:[1,0,1]
	;; [unrolled: 2-line block ×3, first 2 shown]
	v_pk_fma_f16 v22, v69, v1, v22 op_sel_hi:[1,0,1]
	v_pk_fma_f16 v24, v71, v1, v24 op_sel_hi:[1,0,1]
	v_pk_fma_f16 v50, v74, v1, v50 op_sel:[0,1,0]
	v_pk_fma_f16 v55, v75, v1, v55 op_sel_hi:[1,0,1]
	v_pk_fma_f16 v0, v75, v1, v0 op_sel:[0,1,0]
	v_pk_fma_f16 v1, v76, v2, v26 op_sel_hi:[1,0,1]
	v_pk_fma_f16 v26, v76, v2, v27 op_sel:[0,1,0]
	v_pk_fma_f16 v27, v77, v2, v42 op_sel:[0,1,0]
	v_pk_fma_f16 v42, v78, v2, v43 op_sel_hi:[1,0,1]
	v_pk_fma_f16 v43, v78, v2, v44 op_sel:[0,1,0]
	v_pk_fma_f16 v44, v79, v2, v45 op_sel:[0,1,0]
	v_pk_fma_f16 v45, v80, v2, v46 op_sel_hi:[1,0,1]
	v_pk_fma_f16 v46, v80, v2, v47 op_sel:[0,1,0]
	v_pk_fma_f16 v47, v81, v2, v48 op_sel_hi:[1,0,1]
	;; [unrolled: 2-line block ×3, first 2 shown]
	v_pk_fma_f16 v61, v86, v3, v42 op_sel_hi:[1,0,1]
	v_pk_fma_f16 v62, v86, v3, v43 op_sel:[0,1,0]
	v_pk_fma_f16 v63, v87, v3, v44 op_sel:[0,1,0]
	v_pk_fma_f16 v64, v88, v3, v45 op_sel_hi:[1,0,1]
	v_pk_fma_f16 v65, v88, v3, v46 op_sel:[0,1,0]
	v_pk_fma_f16 v66, v89, v3, v47 op_sel_hi:[1,0,1]
	;; [unrolled: 2-line block ×3, first 2 shown]
	s_waitcnt vmcnt(1)
	ds_write_b128 v32, v[92:95]
	s_waitcnt vmcnt(0)
	ds_write_b128 v33, v[96:99]
	s_waitcnt lgkmcnt(0)
	s_barrier
	ds_read2_b64 v[42:45], v34 offset1:32
	ds_read_b128 v[46:49], v31 offset:160
	v_pk_fma_f16 v22, v77, v2, v22 op_sel_hi:[1,0,1]
	v_pk_fma_f16 v24, v79, v2, v24 op_sel_hi:[1,0,1]
	v_pk_fma_f16 v50, v82, v2, v50 op_sel:[0,1,0]
	v_pk_fma_f16 v55, v83, v2, v55 op_sel_hi:[1,0,1]
	v_pk_fma_f16 v0, v83, v2, v0 op_sel:[0,1,0]
	;; [unrolled: 2-line block ×6, first 2 shown]
	ds_read2_b64 v[56:59], v34 offset0:64 offset1:96
	ds_read_b128 v[0:3], v31 offset:176
	s_waitcnt lgkmcnt(2)
	v_pk_fma_f16 v60, v42, v46, v60 op_sel_hi:[1,0,1]
	v_pk_fma_f16 v26, v42, v46, v26 op_sel:[0,1,0]
	v_pk_fma_f16 v22, v43, v46, v22 op_sel_hi:[1,0,1]
	v_pk_fma_f16 v27, v43, v46, v27 op_sel:[0,1,0]
	;; [unrolled: 2-line block ×4, first 2 shown]
	ds_read2_b64 v[42:45], v34 offset0:128 offset1:160
	s_waitcnt lgkmcnt(2)
	v_pk_fma_f16 v64, v56, v46, v64 op_sel_hi:[1,0,1]
	v_pk_fma_f16 v65, v56, v46, v65 op_sel:[0,1,0]
	v_pk_fma_f16 v66, v57, v46, v66 op_sel_hi:[1,0,1]
	v_pk_fma_f16 v67, v57, v46, v67 op_sel:[0,1,0]
	;; [unrolled: 2-line block ×4, first 2 shown]
	ds_read2_b64 v[56:59], v34 offset0:192 offset1:224
	s_waitcnt lgkmcnt(1)
	v_pk_fma_f16 v60, v42, v47, v60 op_sel_hi:[1,0,1]
	v_pk_fma_f16 v26, v42, v47, v26 op_sel:[0,1,0]
	v_pk_fma_f16 v22, v43, v47, v22 op_sel_hi:[1,0,1]
	v_pk_fma_f16 v27, v43, v47, v27 op_sel:[0,1,0]
	;; [unrolled: 2-line block ×4, first 2 shown]
	ds_read2_b64 v[42:45], v20 offset1:32
	s_waitcnt lgkmcnt(1)
	v_pk_fma_f16 v64, v56, v47, v64 op_sel_hi:[1,0,1]
	v_pk_fma_f16 v65, v56, v47, v65 op_sel:[0,1,0]
	v_pk_fma_f16 v66, v57, v47, v66 op_sel_hi:[1,0,1]
	v_pk_fma_f16 v67, v57, v47, v67 op_sel:[0,1,0]
	;; [unrolled: 2-line block ×4, first 2 shown]
	ds_read2_b64 v[56:59], v20 offset0:64 offset1:96
	s_or_b32 s10, s6, 48
	s_mul_hi_i32 s11, s10, s14
	s_mul_i32 s10, s10, s14
	s_lshl_b64 s[10:11], s[10:11], 2
	s_waitcnt lgkmcnt(1)
	v_pk_fma_f16 v100, v42, v48, v26 op_sel:[0,1,0]
	v_pk_fma_f16 v101, v43, v48, v27 op_sel:[0,1,0]
	v_mov_b32_e32 v27, s11
	v_add_co_u32_e32 v26, vcc, s10, v35
	v_addc_co_u32_e32 v27, vcc, v36, v27, vcc
	v_pk_fma_f16 v47, v42, v48, v60 op_sel_hi:[1,0,1]
	v_pk_fma_f16 v22, v43, v48, v22 op_sel_hi:[1,0,1]
	;; [unrolled: 1-line block ×3, first 2 shown]
	v_pk_fma_f16 v103, v44, v48, v62 op_sel:[0,1,0]
	v_pk_fma_f16 v24, v45, v48, v24 op_sel_hi:[1,0,1]
	v_pk_fma_f16 v104, v45, v48, v63 op_sel:[0,1,0]
	s_waitcnt lgkmcnt(0)
	v_pk_fma_f16 v105, v56, v48, v64 op_sel_hi:[1,0,1]
	v_pk_fma_f16 v106, v56, v48, v65 op_sel:[0,1,0]
	v_pk_fma_f16 v107, v57, v48, v66 op_sel_hi:[1,0,1]
	v_pk_fma_f16 v108, v57, v48, v67 op_sel:[0,1,0]
	;; [unrolled: 2-line block ×4, first 2 shown]
	ds_read2_b64 v[42:45], v20 offset0:128 offset1:160
	ds_read2_b64 v[56:59], v20 offset0:192 offset1:224
	ds_read2_b64 v[60:63], v18 offset1:32
	ds_read2_b64 v[64:67], v18 offset0:64 offset1:96
	ds_read2_b64 v[68:71], v18 offset0:128 offset1:160
	;; [unrolled: 1-line block ×3, first 2 shown]
	ds_read2_b64 v[76:79], v16 offset1:32
	ds_read2_b64 v[80:83], v16 offset0:64 offset1:96
	ds_read2_b64 v[84:87], v16 offset0:128 offset1:160
	;; [unrolled: 1-line block ×3, first 2 shown]
	s_waitcnt lgkmcnt(0)
	s_barrier
	global_load_dwordx4 v[92:95], v[26:27], off
	global_load_dwordx4 v[96:99], v[26:27], off offset:512
	v_pk_fma_f16 v26, v42, v49, v47 op_sel_hi:[1,0,1]
	v_pk_fma_f16 v27, v42, v49, v100 op_sel:[0,1,0]
	v_pk_fma_f16 v22, v43, v49, v22 op_sel_hi:[1,0,1]
	v_pk_fma_f16 v42, v43, v49, v101 op_sel:[0,1,0]
	;; [unrolled: 2-line block ×9, first 2 shown]
	v_pk_fma_f16 v42, v61, v0, v42 op_sel:[0,1,0]
	v_pk_fma_f16 v43, v62, v0, v43 op_sel_hi:[1,0,1]
	v_pk_fma_f16 v44, v62, v0, v44 op_sel:[0,1,0]
	v_pk_fma_f16 v45, v63, v0, v45 op_sel:[0,1,0]
	v_pk_fma_f16 v47, v64, v0, v47 op_sel_hi:[1,0,1]
	v_pk_fma_f16 v48, v64, v0, v48 op_sel:[0,1,0]
	v_pk_fma_f16 v49, v65, v0, v56 op_sel_hi:[1,0,1]
	v_pk_fma_f16 v56, v65, v0, v57 op_sel:[0,1,0]
	v_pk_fma_f16 v57, v66, v0, v100 op_sel_hi:[1,0,1]
	v_pk_fma_f16 v22, v61, v0, v22 op_sel_hi:[1,0,1]
	v_pk_fma_f16 v24, v63, v0, v24 op_sel_hi:[1,0,1]
	v_pk_fma_f16 v50, v66, v0, v50 op_sel:[0,1,0]
	v_pk_fma_f16 v55, v67, v0, v55 op_sel_hi:[1,0,1]
	v_pk_fma_f16 v0, v67, v0, v46 op_sel:[0,1,0]
	;; [unrolled: 2-line block ×3, first 2 shown]
	v_pk_fma_f16 v42, v69, v1, v42 op_sel:[0,1,0]
	v_pk_fma_f16 v43, v70, v1, v43 op_sel_hi:[1,0,1]
	v_pk_fma_f16 v44, v70, v1, v44 op_sel:[0,1,0]
	v_pk_fma_f16 v45, v71, v1, v45 op_sel:[0,1,0]
	v_pk_fma_f16 v46, v72, v1, v47 op_sel_hi:[1,0,1]
	v_pk_fma_f16 v47, v72, v1, v48 op_sel:[0,1,0]
	v_pk_fma_f16 v48, v73, v1, v49 op_sel_hi:[1,0,1]
	;; [unrolled: 2-line block ×3, first 2 shown]
	v_pk_fma_f16 v22, v69, v1, v22 op_sel_hi:[1,0,1]
	v_pk_fma_f16 v24, v71, v1, v24 op_sel_hi:[1,0,1]
	v_pk_fma_f16 v50, v74, v1, v50 op_sel:[0,1,0]
	v_pk_fma_f16 v55, v75, v1, v55 op_sel_hi:[1,0,1]
	v_pk_fma_f16 v0, v75, v1, v0 op_sel:[0,1,0]
	;; [unrolled: 2-line block ×3, first 2 shown]
	v_pk_fma_f16 v27, v77, v2, v42 op_sel:[0,1,0]
	v_pk_fma_f16 v42, v78, v2, v43 op_sel_hi:[1,0,1]
	v_pk_fma_f16 v43, v78, v2, v44 op_sel:[0,1,0]
	v_pk_fma_f16 v44, v79, v2, v45 op_sel:[0,1,0]
	v_pk_fma_f16 v45, v80, v2, v46 op_sel_hi:[1,0,1]
	v_pk_fma_f16 v46, v80, v2, v47 op_sel:[0,1,0]
	v_pk_fma_f16 v47, v81, v2, v48 op_sel_hi:[1,0,1]
	;; [unrolled: 2-line block ×3, first 2 shown]
	v_pk_fma_f16 v61, v86, v3, v42 op_sel_hi:[1,0,1]
	v_pk_fma_f16 v62, v86, v3, v43 op_sel:[0,1,0]
	v_pk_fma_f16 v63, v87, v3, v44 op_sel:[0,1,0]
	v_pk_fma_f16 v64, v88, v3, v45 op_sel_hi:[1,0,1]
	v_pk_fma_f16 v65, v88, v3, v46 op_sel:[0,1,0]
	v_pk_fma_f16 v66, v89, v3, v47 op_sel_hi:[1,0,1]
	;; [unrolled: 2-line block ×3, first 2 shown]
	s_waitcnt vmcnt(1)
	ds_write_b128 v32, v[92:95]
	s_waitcnt vmcnt(0)
	ds_write_b128 v33, v[96:99]
	s_waitcnt lgkmcnt(0)
	s_barrier
	ds_read2_b64 v[42:45], v34 offset1:32
	ds_read_b128 v[46:49], v31 offset:192
	v_pk_fma_f16 v22, v77, v2, v22 op_sel_hi:[1,0,1]
	v_pk_fma_f16 v24, v79, v2, v24 op_sel_hi:[1,0,1]
	v_pk_fma_f16 v50, v82, v2, v50 op_sel:[0,1,0]
	v_pk_fma_f16 v55, v83, v2, v55 op_sel_hi:[1,0,1]
	v_pk_fma_f16 v0, v83, v2, v0 op_sel:[0,1,0]
	;; [unrolled: 2-line block ×6, first 2 shown]
	ds_read2_b64 v[56:59], v34 offset0:64 offset1:96
	ds_read_b128 v[0:3], v31 offset:208
	s_waitcnt lgkmcnt(2)
	v_pk_fma_f16 v60, v42, v46, v60 op_sel_hi:[1,0,1]
	v_pk_fma_f16 v26, v42, v46, v26 op_sel:[0,1,0]
	v_pk_fma_f16 v22, v43, v46, v22 op_sel_hi:[1,0,1]
	v_pk_fma_f16 v27, v43, v46, v27 op_sel:[0,1,0]
	;; [unrolled: 2-line block ×4, first 2 shown]
	ds_read2_b64 v[42:45], v34 offset0:128 offset1:160
	s_waitcnt lgkmcnt(2)
	v_pk_fma_f16 v64, v56, v46, v64 op_sel_hi:[1,0,1]
	v_pk_fma_f16 v65, v56, v46, v65 op_sel:[0,1,0]
	v_pk_fma_f16 v66, v57, v46, v66 op_sel_hi:[1,0,1]
	v_pk_fma_f16 v67, v57, v46, v67 op_sel:[0,1,0]
	;; [unrolled: 2-line block ×4, first 2 shown]
	ds_read2_b64 v[56:59], v34 offset0:192 offset1:224
	s_waitcnt lgkmcnt(1)
	v_pk_fma_f16 v60, v42, v47, v60 op_sel_hi:[1,0,1]
	v_pk_fma_f16 v26, v42, v47, v26 op_sel:[0,1,0]
	v_pk_fma_f16 v22, v43, v47, v22 op_sel_hi:[1,0,1]
	v_pk_fma_f16 v27, v43, v47, v27 op_sel:[0,1,0]
	;; [unrolled: 2-line block ×4, first 2 shown]
	ds_read2_b64 v[42:45], v20 offset1:32
	s_waitcnt lgkmcnt(1)
	v_pk_fma_f16 v64, v56, v47, v64 op_sel_hi:[1,0,1]
	v_pk_fma_f16 v65, v56, v47, v65 op_sel:[0,1,0]
	v_pk_fma_f16 v66, v57, v47, v66 op_sel_hi:[1,0,1]
	v_pk_fma_f16 v67, v57, v47, v67 op_sel:[0,1,0]
	;; [unrolled: 2-line block ×4, first 2 shown]
	ds_read2_b64 v[56:59], v20 offset0:64 offset1:96
	s_or_b32 s10, s6, 56
	s_mul_hi_i32 s11, s10, s14
	s_mul_i32 s10, s10, s14
	s_lshl_b64 s[10:11], s[10:11], 2
	s_waitcnt lgkmcnt(1)
	v_pk_fma_f16 v100, v42, v48, v26 op_sel:[0,1,0]
	v_pk_fma_f16 v101, v43, v48, v27 op_sel:[0,1,0]
	v_mov_b32_e32 v27, s11
	v_add_co_u32_e32 v26, vcc, s10, v35
	v_addc_co_u32_e32 v27, vcc, v36, v27, vcc
	v_pk_fma_f16 v47, v42, v48, v60 op_sel_hi:[1,0,1]
	v_pk_fma_f16 v22, v43, v48, v22 op_sel_hi:[1,0,1]
	;; [unrolled: 1-line block ×3, first 2 shown]
	v_pk_fma_f16 v103, v44, v48, v62 op_sel:[0,1,0]
	v_pk_fma_f16 v24, v45, v48, v24 op_sel_hi:[1,0,1]
	v_pk_fma_f16 v104, v45, v48, v63 op_sel:[0,1,0]
	s_waitcnt lgkmcnt(0)
	v_pk_fma_f16 v105, v56, v48, v64 op_sel_hi:[1,0,1]
	v_pk_fma_f16 v106, v56, v48, v65 op_sel:[0,1,0]
	v_pk_fma_f16 v107, v57, v48, v66 op_sel_hi:[1,0,1]
	v_pk_fma_f16 v108, v57, v48, v67 op_sel:[0,1,0]
	;; [unrolled: 2-line block ×4, first 2 shown]
	ds_read2_b64 v[42:45], v20 offset0:128 offset1:160
	ds_read2_b64 v[56:59], v20 offset0:192 offset1:224
	ds_read2_b64 v[60:63], v18 offset1:32
	ds_read2_b64 v[64:67], v18 offset0:64 offset1:96
	ds_read2_b64 v[68:71], v18 offset0:128 offset1:160
	;; [unrolled: 1-line block ×3, first 2 shown]
	ds_read2_b64 v[76:79], v16 offset1:32
	ds_read2_b64 v[80:83], v16 offset0:64 offset1:96
	ds_read2_b64 v[84:87], v16 offset0:128 offset1:160
	;; [unrolled: 1-line block ×3, first 2 shown]
	s_waitcnt lgkmcnt(0)
	s_barrier
	global_load_dwordx4 v[92:95], v[26:27], off
	global_load_dwordx4 v[96:99], v[26:27], off offset:512
	v_pk_fma_f16 v26, v42, v49, v47 op_sel_hi:[1,0,1]
	v_pk_fma_f16 v27, v42, v49, v100 op_sel:[0,1,0]
	v_pk_fma_f16 v22, v43, v49, v22 op_sel_hi:[1,0,1]
	v_pk_fma_f16 v42, v43, v49, v101 op_sel:[0,1,0]
	v_pk_fma_f16 v43, v44, v49, v102 op_sel_hi:[1,0,1]
	v_pk_fma_f16 v44, v44, v49, v103 op_sel:[0,1,0]
	v_pk_fma_f16 v24, v45, v49, v24 op_sel_hi:[1,0,1]
	v_pk_fma_f16 v45, v45, v49, v104 op_sel:[0,1,0]
	v_pk_fma_f16 v47, v56, v49, v105 op_sel_hi:[1,0,1]
	v_pk_fma_f16 v48, v56, v49, v106 op_sel:[0,1,0]
	v_pk_fma_f16 v56, v57, v49, v107 op_sel_hi:[1,0,1]
	v_pk_fma_f16 v57, v57, v49, v108 op_sel:[0,1,0]
	v_pk_fma_f16 v100, v58, v49, v109 op_sel_hi:[1,0,1]
	v_pk_fma_f16 v50, v58, v49, v50 op_sel:[0,1,0]
	v_pk_fma_f16 v55, v59, v49, v55 op_sel_hi:[1,0,1]
	v_pk_fma_f16 v46, v59, v49, v46 op_sel:[0,1,0]
	v_pk_fma_f16 v26, v60, v0, v26 op_sel_hi:[1,0,1]
	v_pk_fma_f16 v27, v60, v0, v27 op_sel:[0,1,0]
	v_pk_fma_f16 v42, v61, v0, v42 op_sel:[0,1,0]
	v_pk_fma_f16 v43, v62, v0, v43 op_sel_hi:[1,0,1]
	v_pk_fma_f16 v44, v62, v0, v44 op_sel:[0,1,0]
	v_pk_fma_f16 v45, v63, v0, v45 op_sel:[0,1,0]
	v_pk_fma_f16 v47, v64, v0, v47 op_sel_hi:[1,0,1]
	v_pk_fma_f16 v48, v64, v0, v48 op_sel:[0,1,0]
	v_pk_fma_f16 v49, v65, v0, v56 op_sel_hi:[1,0,1]
	v_pk_fma_f16 v56, v65, v0, v57 op_sel:[0,1,0]
	v_pk_fma_f16 v57, v66, v0, v100 op_sel_hi:[1,0,1]
	v_pk_fma_f16 v22, v61, v0, v22 op_sel_hi:[1,0,1]
	v_pk_fma_f16 v24, v63, v0, v24 op_sel_hi:[1,0,1]
	v_pk_fma_f16 v50, v66, v0, v50 op_sel:[0,1,0]
	v_pk_fma_f16 v55, v67, v0, v55 op_sel_hi:[1,0,1]
	v_pk_fma_f16 v0, v67, v0, v46 op_sel:[0,1,0]
	v_pk_fma_f16 v26, v68, v1, v26 op_sel_hi:[1,0,1]
	v_pk_fma_f16 v27, v68, v1, v27 op_sel:[0,1,0]
	v_pk_fma_f16 v42, v69, v1, v42 op_sel:[0,1,0]
	v_pk_fma_f16 v43, v70, v1, v43 op_sel_hi:[1,0,1]
	v_pk_fma_f16 v44, v70, v1, v44 op_sel:[0,1,0]
	v_pk_fma_f16 v45, v71, v1, v45 op_sel:[0,1,0]
	v_pk_fma_f16 v46, v72, v1, v47 op_sel_hi:[1,0,1]
	v_pk_fma_f16 v47, v72, v1, v48 op_sel:[0,1,0]
	v_pk_fma_f16 v48, v73, v1, v49 op_sel_hi:[1,0,1]
	v_pk_fma_f16 v49, v73, v1, v56 op_sel:[0,1,0]
	v_pk_fma_f16 v56, v74, v1, v57 op_sel_hi:[1,0,1]
	v_pk_fma_f16 v22, v69, v1, v22 op_sel_hi:[1,0,1]
	v_pk_fma_f16 v24, v71, v1, v24 op_sel_hi:[1,0,1]
	v_pk_fma_f16 v50, v74, v1, v50 op_sel:[0,1,0]
	v_pk_fma_f16 v55, v75, v1, v55 op_sel_hi:[1,0,1]
	v_pk_fma_f16 v0, v75, v1, v0 op_sel:[0,1,0]
	v_pk_fma_f16 v1, v76, v2, v26 op_sel_hi:[1,0,1]
	v_pk_fma_f16 v26, v76, v2, v27 op_sel:[0,1,0]
	;; [unrolled: 16-line block ×3, first 2 shown]
	v_pk_fma_f16 v63, v87, v3, v44 op_sel:[0,1,0]
	v_pk_fma_f16 v64, v88, v3, v45 op_sel_hi:[1,0,1]
	v_pk_fma_f16 v65, v88, v3, v46 op_sel:[0,1,0]
	v_pk_fma_f16 v66, v89, v3, v47 op_sel_hi:[1,0,1]
	;; [unrolled: 2-line block ×3, first 2 shown]
	s_waitcnt vmcnt(1)
	ds_write_b128 v32, v[92:95]
	s_waitcnt vmcnt(0)
	ds_write_b128 v33, v[96:99]
	s_waitcnt lgkmcnt(0)
	s_barrier
	ds_read2_b64 v[42:45], v34 offset1:32
	ds_read_b128 v[46:49], v31 offset:224
	v_pk_fma_f16 v60, v84, v3, v1 op_sel_hi:[1,0,1]
	v_pk_fma_f16 v26, v84, v3, v26 op_sel:[0,1,0]
	v_pk_fma_f16 v22, v85, v3, v22 op_sel_hi:[1,0,1]
	v_pk_fma_f16 v27, v85, v3, v27 op_sel:[0,1,0]
	;; [unrolled: 2-line block ×4, first 2 shown]
	ds_read2_b64 v[0:3], v34 offset0:64 offset1:96
	ds_read_b128 v[56:59], v31 offset:240
	s_waitcnt lgkmcnt(2)
	v_pk_fma_f16 v60, v42, v46, v60 op_sel_hi:[1,0,1]
	v_pk_fma_f16 v26, v42, v46, v26 op_sel:[0,1,0]
	v_pk_fma_f16 v22, v43, v46, v22 op_sel_hi:[1,0,1]
	v_pk_fma_f16 v27, v43, v46, v27 op_sel:[0,1,0]
	;; [unrolled: 2-line block ×4, first 2 shown]
	s_waitcnt lgkmcnt(1)
	v_pk_fma_f16 v64, v0, v46, v64 op_sel_hi:[1,0,1]
	v_pk_fma_f16 v65, v0, v46, v65 op_sel:[0,1,0]
	v_pk_fma_f16 v66, v1, v46, v66 op_sel_hi:[1,0,1]
	v_pk_fma_f16 v67, v1, v46, v67 op_sel:[0,1,0]
	v_pk_fma_f16 v68, v2, v46, v68 op_sel_hi:[1,0,1]
	ds_read2_b64 v[42:45], v34 offset0:128 offset1:160
	v_pk_fma_f16 v50, v2, v46, v50 op_sel:[0,1,0]
	v_pk_fma_f16 v55, v3, v46, v55 op_sel_hi:[1,0,1]
	v_pk_fma_f16 v46, v3, v46, v69 op_sel:[0,1,0]
	ds_read2_b64 v[0:3], v34 offset0:192 offset1:224
	s_waitcnt lgkmcnt(1)
	v_pk_fma_f16 v60, v42, v47, v60 op_sel_hi:[1,0,1]
	v_pk_fma_f16 v26, v42, v47, v26 op_sel:[0,1,0]
	v_pk_fma_f16 v22, v43, v47, v22 op_sel_hi:[1,0,1]
	v_pk_fma_f16 v27, v43, v47, v27 op_sel:[0,1,0]
	;; [unrolled: 2-line block ×4, first 2 shown]
	s_waitcnt lgkmcnt(0)
	v_pk_fma_f16 v64, v0, v47, v64 op_sel_hi:[1,0,1]
	v_pk_fma_f16 v65, v0, v47, v65 op_sel:[0,1,0]
	v_pk_fma_f16 v66, v1, v47, v66 op_sel_hi:[1,0,1]
	v_pk_fma_f16 v67, v1, v47, v67 op_sel:[0,1,0]
	v_pk_fma_f16 v68, v2, v47, v68 op_sel_hi:[1,0,1]
	ds_read2_b64 v[42:45], v20 offset1:32
	v_pk_fma_f16 v50, v2, v47, v50 op_sel:[0,1,0]
	v_pk_fma_f16 v55, v3, v47, v55 op_sel_hi:[1,0,1]
	v_pk_fma_f16 v46, v3, v47, v46 op_sel:[0,1,0]
	ds_read2_b64 v[0:3], v20 offset0:64 offset1:96
	s_waitcnt lgkmcnt(1)
	v_pk_fma_f16 v47, v42, v48, v60 op_sel_hi:[1,0,1]
	v_pk_fma_f16 v26, v42, v48, v26 op_sel:[0,1,0]
	v_pk_fma_f16 v22, v43, v48, v22 op_sel_hi:[1,0,1]
	v_pk_fma_f16 v27, v43, v48, v27 op_sel:[0,1,0]
	;; [unrolled: 2-line block ×4, first 2 shown]
	s_waitcnt lgkmcnt(0)
	v_pk_fma_f16 v63, v0, v48, v64 op_sel_hi:[1,0,1]
	v_pk_fma_f16 v64, v0, v48, v65 op_sel:[0,1,0]
	v_pk_fma_f16 v65, v1, v48, v66 op_sel_hi:[1,0,1]
	v_pk_fma_f16 v66, v1, v48, v67 op_sel:[0,1,0]
	v_pk_fma_f16 v67, v2, v48, v68 op_sel_hi:[1,0,1]
	ds_read2_b64 v[42:45], v20 offset0:128 offset1:160
	v_pk_fma_f16 v50, v2, v48, v50 op_sel:[0,1,0]
	v_pk_fma_f16 v55, v3, v48, v55 op_sel_hi:[1,0,1]
	v_pk_fma_f16 v46, v3, v48, v46 op_sel:[0,1,0]
	ds_read2_b64 v[0:3], v20 offset0:192 offset1:224
	s_waitcnt lgkmcnt(1)
	v_pk_fma_f16 v20, v42, v49, v47 op_sel_hi:[1,0,1]
	v_pk_fma_f16 v26, v42, v49, v26 op_sel:[0,1,0]
	v_pk_fma_f16 v22, v43, v49, v22 op_sel_hi:[1,0,1]
	v_pk_fma_f16 v27, v43, v49, v27 op_sel:[0,1,0]
	;; [unrolled: 2-line block ×4, first 2 shown]
	s_waitcnt lgkmcnt(0)
	v_pk_fma_f16 v61, v0, v49, v63 op_sel_hi:[1,0,1]
	v_pk_fma_f16 v62, v0, v49, v64 op_sel:[0,1,0]
	v_pk_fma_f16 v63, v1, v49, v65 op_sel_hi:[1,0,1]
	v_pk_fma_f16 v64, v1, v49, v66 op_sel:[0,1,0]
	v_pk_fma_f16 v65, v2, v49, v67 op_sel_hi:[1,0,1]
	ds_read2_b64 v[42:45], v18 offset1:32
	v_pk_fma_f16 v50, v2, v49, v50 op_sel:[0,1,0]
	v_pk_fma_f16 v55, v3, v49, v55 op_sel_hi:[1,0,1]
	v_pk_fma_f16 v46, v3, v49, v46 op_sel:[0,1,0]
	ds_read2_b64 v[0:3], v18 offset0:64 offset1:96
	s_waitcnt lgkmcnt(1)
	v_pk_fma_f16 v20, v42, v56, v20 op_sel_hi:[1,0,1]
	v_pk_fma_f16 v26, v42, v56, v26 op_sel:[0,1,0]
	v_pk_fma_f16 v22, v43, v56, v22 op_sel_hi:[1,0,1]
	v_pk_fma_f16 v27, v43, v56, v27 op_sel:[0,1,0]
	;; [unrolled: 2-line block ×4, first 2 shown]
	s_waitcnt lgkmcnt(0)
	v_pk_fma_f16 v60, v0, v56, v61 op_sel_hi:[1,0,1]
	v_pk_fma_f16 v61, v0, v56, v62 op_sel:[0,1,0]
	v_pk_fma_f16 v62, v1, v56, v63 op_sel_hi:[1,0,1]
	v_pk_fma_f16 v63, v1, v56, v64 op_sel:[0,1,0]
	v_pk_fma_f16 v64, v2, v56, v65 op_sel_hi:[1,0,1]
	ds_read2_b64 v[42:45], v18 offset0:128 offset1:160
	v_pk_fma_f16 v50, v2, v56, v50 op_sel:[0,1,0]
	v_pk_fma_f16 v55, v3, v56, v55 op_sel_hi:[1,0,1]
	v_pk_fma_f16 v46, v3, v56, v46 op_sel:[0,1,0]
	ds_read2_b64 v[0:3], v18 offset0:192 offset1:224
	s_waitcnt lgkmcnt(1)
	v_pk_fma_f16 v18, v42, v57, v20 op_sel_hi:[1,0,1]
	v_pk_fma_f16 v20, v42, v57, v26 op_sel:[0,1,0]
	v_pk_fma_f16 v26, v43, v57, v27 op_sel:[0,1,0]
	v_pk_fma_f16 v27, v44, v57, v47 op_sel_hi:[1,0,1]
	v_pk_fma_f16 v47, v44, v57, v48 op_sel:[0,1,0]
	v_pk_fma_f16 v48, v45, v57, v49 op_sel:[0,1,0]
	s_waitcnt lgkmcnt(0)
	v_pk_fma_f16 v49, v0, v57, v60 op_sel_hi:[1,0,1]
	v_pk_fma_f16 v56, v0, v57, v61 op_sel:[0,1,0]
	v_pk_fma_f16 v60, v1, v57, v62 op_sel_hi:[1,0,1]
	v_pk_fma_f16 v61, v1, v57, v63 op_sel:[0,1,0]
	;; [unrolled: 2-line block ×4, first 2 shown]
	ds_read2_b64 v[0:3], v16 offset0:64 offset1:96
	v_pk_fma_f16 v22, v43, v57, v22 op_sel_hi:[1,0,1]
	v_pk_fma_f16 v24, v45, v57, v24 op_sel_hi:[1,0,1]
	ds_read2_b64 v[42:45], v16 offset1:32
	ds_read2_b64 v[64:67], v16 offset0:192 offset1:224
	s_waitcnt lgkmcnt(2)
	v_pk_fma_f16 v49, v0, v58, v49 op_sel_hi:[1,0,1]
	v_pk_fma_f16 v0, v0, v58, v56 op_sel:[0,1,0]
	v_pk_fma_f16 v56, v1, v58, v60 op_sel_hi:[1,0,1]
	v_pk_fma_f16 v1, v1, v58, v61 op_sel:[0,1,0]
	v_pk_fma_f16 v57, v2, v58, v62 op_sel_hi:[1,0,1]
	ds_read2_b64 v[60:63], v16 offset0:128 offset1:160
	s_waitcnt lgkmcnt(0)
	s_barrier
	s_load_dword s10, s[8:9], 0x4
	v_pk_fma_f16 v18, v42, v58, v18 op_sel_hi:[1,0,1]
	v_pk_fma_f16 v20, v42, v58, v20 op_sel:[0,1,0]
	v_pk_fma_f16 v22, v43, v58, v22 op_sel_hi:[1,0,1]
	v_pk_fma_f16 v26, v43, v58, v26 op_sel:[0,1,0]
	s_waitcnt lgkmcnt(0)
	s_lshl_b32 s10, s10, 6
	v_pk_fma_f16 v27, v44, v58, v27 op_sel_hi:[1,0,1]
	v_pk_fma_f16 v42, v44, v58, v47 op_sel:[0,1,0]
	v_pk_fma_f16 v24, v45, v58, v24 op_sel_hi:[1,0,1]
	v_pk_fma_f16 v45, v45, v58, v48 op_sel:[0,1,0]
	v_pk_fma_f16 v50, v2, v58, v50 op_sel:[0,1,0]
	v_pk_fma_f16 v55, v3, v58, v55 op_sel_hi:[1,0,1]
	v_pk_fma_f16 v58, v3, v58, v46 op_sel:[0,1,0]
	s_add_i32 s6, s10, s6
	v_pk_fma_f16 v47, v60, v59, v18 op_sel_hi:[1,0,1]
	v_pk_fma_f16 v44, v60, v59, v20 op_sel:[0,1,0]
	v_pk_fma_f16 v22, v61, v59, v22 op_sel_hi:[1,0,1]
	v_pk_fma_f16 v16, v61, v59, v26 op_sel:[0,1,0]
	;; [unrolled: 2-line block ×7, first 2 shown]
	v_pk_fma_f16 v18, v67, v59, v55 op_sel_hi:[1,0,1]
	s_cmp_ge_i32 s6, s28
	v_pk_fma_f16 v1, v67, v59, v58 op_sel:[0,1,0]
	s_cbranch_scc1 .LBB27_26
.LBB27_10:                              ; =>This Inner Loop Header: Depth=1
	s_mul_hi_i32 s11, s6, s15
	s_mul_i32 s10, s6, s15
	s_lshl_b64 s[10:11], s[10:11], 2
	s_add_u32 s10, s18, s10
	s_addc_u32 s11, s19, s11
	v_mov_b32_e32 v26, s11
	v_add_co_u32_e32 v27, vcc, s10, v12
	v_addc_co_u32_e32 v28, vcc, v26, v13, vcc
	v_add_co_u32_e32 v26, vcc, v27, v37
	v_addc_co_u32_e32 v27, vcc, 0, v28, vcc
	v_mov_b32_e32 v28, s11
	v_add_co_u32_e32 v29, vcc, s10, v14
	v_addc_co_u32_e32 v49, vcc, v28, v15, vcc
	v_add_co_u32_e32 v28, vcc, v29, v37
	v_addc_co_u32_e32 v29, vcc, 0, v49, vcc
	global_load_dwordx4 v[52:55], v[26:27], off
	global_load_dwordx4 v[56:59], v[28:29], off
	v_mov_b32_e32 v51, 0
	v_mov_b32_e32 v49, 0
	;; [unrolled: 1-line block ×3, first 2 shown]
	s_waitcnt vmcnt(1)
	ds_write_b128 v21, v[52:55]
	s_waitcnt vmcnt(0)
	ds_write_b128 v23, v[56:59]
	s_waitcnt lgkmcnt(0)
	s_barrier
	ds_read_b128 v[54:57], v30
	ds_read_b128 v[58:61], v25 offset:16384
	ds_read_b128 v[62:65], v25 offset:20992
	;; [unrolled: 1-line block ×3, first 2 shown]
	s_waitcnt lgkmcnt(2)
	;;#ASMSTART
	v_dot2_f32_f16 v51, v58, v54, v51
	;;#ASMEND
	;;#ASMSTART
	v_dot2_f32_f16 v51, v59, v55, v51
	;;#ASMEND
	;; [unrolled: 3-line block ×4, first 2 shown]
	s_waitcnt lgkmcnt(0)
	;;#ASMSTART
	v_dot2_f32_f16 v49, v58, v66, v49
	;;#ASMEND
	;;#ASMSTART
	v_dot2_f32_f16 v49, v59, v67, v49
	;;#ASMEND
	v_mov_b32_e32 v52, 0
	;;#ASMSTART
	v_dot2_f32_f16 v49, v60, v68, v49
	;;#ASMEND
	;;#ASMSTART
	v_dot2_f32_f16 v49, v61, v69, v49
	;;#ASMEND
	;;#ASMSTART
	v_dot2_f32_f16 v52, v62, v54, v52
	;;#ASMEND
	;;#ASMSTART
	v_dot2_f32_f16 v52, v63, v55, v52
	;;#ASMEND
	;;#ASMSTART
	v_dot2_f32_f16 v52, v64, v56, v52
	;;#ASMEND
	;;#ASMSTART
	v_dot2_f32_f16 v52, v65, v57, v52
	;;#ASMEND
	;;#ASMSTART
	v_dot2_f32_f16 v50, v62, v66, v50
	;;#ASMEND
	;;#ASMSTART
	v_dot2_f32_f16 v50, v63, v67, v50
	;;#ASMEND
	;;#ASMSTART
	v_dot2_f32_f16 v50, v64, v68, v50
	;;#ASMEND
	;;#ASMSTART
	v_dot2_f32_f16 v50, v65, v69, v50
	;;#ASMEND
	ds_read_b128 v[54:57], v30 offset:16
	ds_read_b128 v[58:61], v25 offset:16400
	ds_read_b128 v[62:65], v25 offset:21008
	ds_read_b128 v[66:69], v30 offset:1040
	s_waitcnt lgkmcnt(2)
	;;#ASMSTART
	v_dot2_f32_f16 v51, v58, v54, v51
	;;#ASMEND
	;;#ASMSTART
	v_dot2_f32_f16 v51, v59, v55, v51
	;;#ASMEND
	;;#ASMSTART
	v_dot2_f32_f16 v51, v60, v56, v51
	;;#ASMEND
	;;#ASMSTART
	v_dot2_f32_f16 v51, v61, v57, v51
	;;#ASMEND
	s_waitcnt lgkmcnt(0)
	;;#ASMSTART
	v_dot2_f32_f16 v49, v58, v66, v49
	;;#ASMEND
	;;#ASMSTART
	v_dot2_f32_f16 v49, v59, v67, v49
	;;#ASMEND
	;;#ASMSTART
	v_dot2_f32_f16 v49, v60, v68, v49
	;;#ASMEND
	;;#ASMSTART
	v_dot2_f32_f16 v49, v61, v69, v49
	;;#ASMEND
	;;#ASMSTART
	v_dot2_f32_f16 v52, v62, v54, v52
	;;#ASMEND
	;;#ASMSTART
	v_dot2_f32_f16 v52, v63, v55, v52
	;;#ASMEND
	;;#ASMSTART
	v_dot2_f32_f16 v52, v64, v56, v52
	;;#ASMEND
	;;#ASMSTART
	v_dot2_f32_f16 v52, v65, v57, v52
	;;#ASMEND
	;;#ASMSTART
	v_dot2_f32_f16 v50, v62, v66, v50
	;;#ASMEND
	;;#ASMSTART
	v_dot2_f32_f16 v50, v63, v67, v50
	;;#ASMEND
	;;#ASMSTART
	v_dot2_f32_f16 v50, v64, v68, v50
	;;#ASMEND
	;;#ASMSTART
	v_dot2_f32_f16 v50, v65, v69, v50
	;;#ASMEND
	ds_read_b128 v[54:57], v30 offset:32
	ds_read_b128 v[58:61], v25 offset:16416
	ds_read_b128 v[62:65], v25 offset:21024
	ds_read_b128 v[66:69], v30 offset:1056
	s_waitcnt lgkmcnt(2)
	;;#ASMSTART
	v_dot2_f32_f16 v51, v58, v54, v51
	;;#ASMEND
	;;#ASMSTART
	v_dot2_f32_f16 v51, v59, v55, v51
	;;#ASMEND
	;;#ASMSTART
	v_dot2_f32_f16 v51, v60, v56, v51
	;;#ASMEND
	;;#ASMSTART
	v_dot2_f32_f16 v51, v61, v57, v51
	;;#ASMEND
	s_waitcnt lgkmcnt(0)
	;;#ASMSTART
	v_dot2_f32_f16 v49, v58, v66, v49
	;;#ASMEND
	;;#ASMSTART
	v_dot2_f32_f16 v49, v59, v67, v49
	;;#ASMEND
	;; [unrolled: 54-line block ×7, first 2 shown]
	;;#ASMSTART
	v_dot2_f32_f16 v49, v60, v68, v49
	;;#ASMEND
	;;#ASMSTART
	v_dot2_f32_f16 v49, v61, v69, v49
	;;#ASMEND
	;;#ASMSTART
	v_dot2_f32_f16 v52, v62, v54, v52
	;;#ASMEND
	;;#ASMSTART
	v_dot2_f32_f16 v52, v63, v55, v52
	;;#ASMEND
	;;#ASMSTART
	v_dot2_f32_f16 v52, v64, v56, v52
	;;#ASMEND
	;;#ASMSTART
	v_dot2_f32_f16 v52, v65, v57, v52
	;;#ASMEND
	;;#ASMSTART
	v_dot2_f32_f16 v50, v62, v66, v50
	;;#ASMEND
	;;#ASMSTART
	v_dot2_f32_f16 v50, v63, v67, v50
	;;#ASMEND
	;;#ASMSTART
	v_dot2_f32_f16 v50, v64, v68, v50
	;;#ASMEND
	;;#ASMSTART
	v_dot2_f32_f16 v50, v65, v69, v50
	;;#ASMEND
	s_barrier
	global_load_dwordx4 v[54:57], v[26:27], off offset:128
	global_load_dwordx4 v[58:61], v[28:29], off offset:128
	s_waitcnt vmcnt(1)
	ds_write_b128 v21, v[54:57]
	s_waitcnt vmcnt(0)
	ds_write_b128 v23, v[58:61]
	s_waitcnt lgkmcnt(0)
	s_barrier
	ds_read_b128 v[54:57], v30 offset:128
	ds_read_b128 v[58:61], v25 offset:16384
	ds_read_b128 v[62:65], v25 offset:20992
	ds_read_b128 v[66:69], v30 offset:1152
	s_waitcnt lgkmcnt(2)
	;;#ASMSTART
	v_dot2_f32_f16 v51, v58, v54, v51
	;;#ASMEND
	;;#ASMSTART
	v_dot2_f32_f16 v51, v59, v55, v51
	;;#ASMEND
	;;#ASMSTART
	v_dot2_f32_f16 v51, v60, v56, v51
	;;#ASMEND
	;;#ASMSTART
	v_dot2_f32_f16 v51, v61, v57, v51
	;;#ASMEND
	s_waitcnt lgkmcnt(0)
	;;#ASMSTART
	v_dot2_f32_f16 v49, v58, v66, v49
	;;#ASMEND
	;;#ASMSTART
	v_dot2_f32_f16 v49, v59, v67, v49
	;;#ASMEND
	;;#ASMSTART
	v_dot2_f32_f16 v49, v60, v68, v49
	;;#ASMEND
	;;#ASMSTART
	v_dot2_f32_f16 v49, v61, v69, v49
	;;#ASMEND
	;;#ASMSTART
	v_dot2_f32_f16 v52, v62, v54, v52
	;;#ASMEND
	;;#ASMSTART
	v_dot2_f32_f16 v52, v63, v55, v52
	;;#ASMEND
	;;#ASMSTART
	v_dot2_f32_f16 v52, v64, v56, v52
	;;#ASMEND
	;;#ASMSTART
	v_dot2_f32_f16 v52, v65, v57, v52
	;;#ASMEND
	;;#ASMSTART
	v_dot2_f32_f16 v50, v62, v66, v50
	;;#ASMEND
	;;#ASMSTART
	v_dot2_f32_f16 v50, v63, v67, v50
	;;#ASMEND
	;;#ASMSTART
	v_dot2_f32_f16 v50, v64, v68, v50
	;;#ASMEND
	;;#ASMSTART
	v_dot2_f32_f16 v50, v65, v69, v50
	;;#ASMEND
	ds_read_b128 v[54:57], v30 offset:144
	ds_read_b128 v[58:61], v25 offset:16400
	ds_read_b128 v[62:65], v25 offset:21008
	ds_read_b128 v[66:69], v30 offset:1168
	s_waitcnt lgkmcnt(2)
	;;#ASMSTART
	v_dot2_f32_f16 v51, v58, v54, v51
	;;#ASMEND
	;;#ASMSTART
	v_dot2_f32_f16 v51, v59, v55, v51
	;;#ASMEND
	;;#ASMSTART
	v_dot2_f32_f16 v51, v60, v56, v51
	;;#ASMEND
	;;#ASMSTART
	v_dot2_f32_f16 v51, v61, v57, v51
	;;#ASMEND
	s_waitcnt lgkmcnt(0)
	;;#ASMSTART
	v_dot2_f32_f16 v49, v58, v66, v49
	;;#ASMEND
	;;#ASMSTART
	v_dot2_f32_f16 v49, v59, v67, v49
	;;#ASMEND
	;;#ASMSTART
	v_dot2_f32_f16 v49, v60, v68, v49
	;;#ASMEND
	;;#ASMSTART
	v_dot2_f32_f16 v49, v61, v69, v49
	;;#ASMEND
	;;#ASMSTART
	v_dot2_f32_f16 v52, v62, v54, v52
	;;#ASMEND
	;;#ASMSTART
	v_dot2_f32_f16 v52, v63, v55, v52
	;;#ASMEND
	;;#ASMSTART
	v_dot2_f32_f16 v52, v64, v56, v52
	;;#ASMEND
	;;#ASMSTART
	v_dot2_f32_f16 v52, v65, v57, v52
	;;#ASMEND
	;;#ASMSTART
	v_dot2_f32_f16 v50, v62, v66, v50
	;;#ASMEND
	;;#ASMSTART
	v_dot2_f32_f16 v50, v63, v67, v50
	;;#ASMEND
	;;#ASMSTART
	v_dot2_f32_f16 v50, v64, v68, v50
	;;#ASMEND
	;;#ASMSTART
	v_dot2_f32_f16 v50, v65, v69, v50
	;;#ASMEND
	;; [unrolled: 54-line block ×8, first 2 shown]
	s_barrier
	global_load_dwordx4 v[54:57], v[26:27], off offset:256
	global_load_dwordx4 v[58:61], v[28:29], off offset:256
	s_waitcnt vmcnt(1)
	ds_write_b128 v21, v[54:57]
	s_waitcnt vmcnt(0)
	ds_write_b128 v23, v[58:61]
	s_waitcnt lgkmcnt(0)
	s_barrier
	ds_read_b128 v[54:57], v30 offset:256
	ds_read_b128 v[58:61], v25 offset:16384
	ds_read_b128 v[62:65], v25 offset:20992
	ds_read_b128 v[66:69], v30 offset:1280
	s_waitcnt lgkmcnt(2)
	;;#ASMSTART
	v_dot2_f32_f16 v51, v58, v54, v51
	;;#ASMEND
	;;#ASMSTART
	v_dot2_f32_f16 v51, v59, v55, v51
	;;#ASMEND
	;;#ASMSTART
	v_dot2_f32_f16 v51, v60, v56, v51
	;;#ASMEND
	;;#ASMSTART
	v_dot2_f32_f16 v51, v61, v57, v51
	;;#ASMEND
	s_waitcnt lgkmcnt(0)
	;;#ASMSTART
	v_dot2_f32_f16 v49, v58, v66, v49
	;;#ASMEND
	;;#ASMSTART
	v_dot2_f32_f16 v49, v59, v67, v49
	;;#ASMEND
	;;#ASMSTART
	v_dot2_f32_f16 v49, v60, v68, v49
	;;#ASMEND
	;;#ASMSTART
	v_dot2_f32_f16 v49, v61, v69, v49
	;;#ASMEND
	;;#ASMSTART
	v_dot2_f32_f16 v52, v62, v54, v52
	;;#ASMEND
	;;#ASMSTART
	v_dot2_f32_f16 v52, v63, v55, v52
	;;#ASMEND
	;;#ASMSTART
	v_dot2_f32_f16 v52, v64, v56, v52
	;;#ASMEND
	;;#ASMSTART
	v_dot2_f32_f16 v52, v65, v57, v52
	;;#ASMEND
	;;#ASMSTART
	v_dot2_f32_f16 v50, v62, v66, v50
	;;#ASMEND
	;;#ASMSTART
	v_dot2_f32_f16 v50, v63, v67, v50
	;;#ASMEND
	;;#ASMSTART
	v_dot2_f32_f16 v50, v64, v68, v50
	;;#ASMEND
	;;#ASMSTART
	v_dot2_f32_f16 v50, v65, v69, v50
	;;#ASMEND
	ds_read_b128 v[54:57], v30 offset:272
	ds_read_b128 v[58:61], v25 offset:16400
	ds_read_b128 v[62:65], v25 offset:21008
	ds_read_b128 v[66:69], v30 offset:1296
	s_waitcnt lgkmcnt(2)
	;;#ASMSTART
	v_dot2_f32_f16 v51, v58, v54, v51
	;;#ASMEND
	;;#ASMSTART
	v_dot2_f32_f16 v51, v59, v55, v51
	;;#ASMEND
	;;#ASMSTART
	v_dot2_f32_f16 v51, v60, v56, v51
	;;#ASMEND
	;;#ASMSTART
	v_dot2_f32_f16 v51, v61, v57, v51
	;;#ASMEND
	s_waitcnt lgkmcnt(0)
	;;#ASMSTART
	v_dot2_f32_f16 v49, v58, v66, v49
	;;#ASMEND
	;;#ASMSTART
	v_dot2_f32_f16 v49, v59, v67, v49
	;;#ASMEND
	;;#ASMSTART
	v_dot2_f32_f16 v49, v60, v68, v49
	;;#ASMEND
	;;#ASMSTART
	v_dot2_f32_f16 v49, v61, v69, v49
	;;#ASMEND
	;;#ASMSTART
	v_dot2_f32_f16 v52, v62, v54, v52
	;;#ASMEND
	;;#ASMSTART
	v_dot2_f32_f16 v52, v63, v55, v52
	;;#ASMEND
	;;#ASMSTART
	v_dot2_f32_f16 v52, v64, v56, v52
	;;#ASMEND
	;;#ASMSTART
	v_dot2_f32_f16 v52, v65, v57, v52
	;;#ASMEND
	;;#ASMSTART
	v_dot2_f32_f16 v50, v62, v66, v50
	;;#ASMEND
	;;#ASMSTART
	v_dot2_f32_f16 v50, v63, v67, v50
	;;#ASMEND
	;;#ASMSTART
	v_dot2_f32_f16 v50, v64, v68, v50
	;;#ASMEND
	;;#ASMSTART
	v_dot2_f32_f16 v50, v65, v69, v50
	;;#ASMEND
	;; [unrolled: 54-line block ×8, first 2 shown]
	s_barrier
	global_load_dwordx4 v[54:57], v[26:27], off offset:384
	global_load_dwordx4 v[58:61], v[28:29], off offset:384
	s_waitcnt vmcnt(1)
	ds_write_b128 v21, v[54:57]
	s_waitcnt vmcnt(0)
	ds_write_b128 v23, v[58:61]
	s_waitcnt lgkmcnt(0)
	s_barrier
	ds_read_b128 v[54:57], v30 offset:384
	ds_read_b128 v[58:61], v25 offset:16384
	ds_read_b128 v[62:65], v25 offset:20992
	ds_read_b128 v[66:69], v30 offset:1408
	s_waitcnt lgkmcnt(2)
	;;#ASMSTART
	v_dot2_f32_f16 v51, v58, v54, v51
	;;#ASMEND
	;;#ASMSTART
	v_dot2_f32_f16 v51, v59, v55, v51
	;;#ASMEND
	;;#ASMSTART
	v_dot2_f32_f16 v51, v60, v56, v51
	;;#ASMEND
	;;#ASMSTART
	v_dot2_f32_f16 v51, v61, v57, v51
	;;#ASMEND
	s_waitcnt lgkmcnt(0)
	;;#ASMSTART
	v_dot2_f32_f16 v49, v58, v66, v49
	;;#ASMEND
	;;#ASMSTART
	v_dot2_f32_f16 v49, v59, v67, v49
	;;#ASMEND
	;;#ASMSTART
	v_dot2_f32_f16 v49, v60, v68, v49
	;;#ASMEND
	;;#ASMSTART
	v_dot2_f32_f16 v49, v61, v69, v49
	;;#ASMEND
	;;#ASMSTART
	v_dot2_f32_f16 v52, v62, v54, v52
	;;#ASMEND
	;;#ASMSTART
	v_dot2_f32_f16 v52, v63, v55, v52
	;;#ASMEND
	;;#ASMSTART
	v_dot2_f32_f16 v52, v64, v56, v52
	;;#ASMEND
	;;#ASMSTART
	v_dot2_f32_f16 v52, v65, v57, v52
	;;#ASMEND
	;;#ASMSTART
	v_dot2_f32_f16 v50, v62, v66, v50
	;;#ASMEND
	;;#ASMSTART
	v_dot2_f32_f16 v50, v63, v67, v50
	;;#ASMEND
	;;#ASMSTART
	v_dot2_f32_f16 v50, v64, v68, v50
	;;#ASMEND
	;;#ASMSTART
	v_dot2_f32_f16 v50, v65, v69, v50
	;;#ASMEND
	ds_read_b128 v[54:57], v30 offset:400
	ds_read_b128 v[58:61], v25 offset:16400
	ds_read_b128 v[62:65], v25 offset:21008
	ds_read_b128 v[66:69], v30 offset:1424
	s_waitcnt lgkmcnt(2)
	;;#ASMSTART
	v_dot2_f32_f16 v51, v58, v54, v51
	;;#ASMEND
	;;#ASMSTART
	v_dot2_f32_f16 v51, v59, v55, v51
	;;#ASMEND
	;;#ASMSTART
	v_dot2_f32_f16 v51, v60, v56, v51
	;;#ASMEND
	;;#ASMSTART
	v_dot2_f32_f16 v51, v61, v57, v51
	;;#ASMEND
	s_waitcnt lgkmcnt(0)
	;;#ASMSTART
	v_dot2_f32_f16 v49, v58, v66, v49
	;;#ASMEND
	;;#ASMSTART
	v_dot2_f32_f16 v49, v59, v67, v49
	;;#ASMEND
	;;#ASMSTART
	v_dot2_f32_f16 v49, v60, v68, v49
	;;#ASMEND
	;;#ASMSTART
	v_dot2_f32_f16 v49, v61, v69, v49
	;;#ASMEND
	;;#ASMSTART
	v_dot2_f32_f16 v52, v62, v54, v52
	;;#ASMEND
	;;#ASMSTART
	v_dot2_f32_f16 v52, v63, v55, v52
	;;#ASMEND
	;;#ASMSTART
	v_dot2_f32_f16 v52, v64, v56, v52
	;;#ASMEND
	;;#ASMSTART
	v_dot2_f32_f16 v52, v65, v57, v52
	;;#ASMEND
	;;#ASMSTART
	v_dot2_f32_f16 v50, v62, v66, v50
	;;#ASMEND
	;;#ASMSTART
	v_dot2_f32_f16 v50, v63, v67, v50
	;;#ASMEND
	;;#ASMSTART
	v_dot2_f32_f16 v50, v64, v68, v50
	;;#ASMEND
	;;#ASMSTART
	v_dot2_f32_f16 v50, v65, v69, v50
	;;#ASMEND
	;; [unrolled: 54-line block ×8, first 2 shown]
	s_barrier
	global_load_dwordx4 v[54:57], v[26:27], off offset:512
	global_load_dwordx4 v[58:61], v[28:29], off offset:512
	s_waitcnt vmcnt(1)
	ds_write_b128 v21, v[54:57]
	s_waitcnt vmcnt(0)
	ds_write_b128 v23, v[58:61]
	s_waitcnt lgkmcnt(0)
	s_barrier
	ds_read_b128 v[54:57], v30 offset:512
	ds_read_b128 v[58:61], v25 offset:16384
	ds_read_b128 v[62:65], v25 offset:20992
	ds_read_b128 v[66:69], v30 offset:1536
	s_waitcnt lgkmcnt(2)
	;;#ASMSTART
	v_dot2_f32_f16 v51, v58, v54, v51
	;;#ASMEND
	;;#ASMSTART
	v_dot2_f32_f16 v51, v59, v55, v51
	;;#ASMEND
	;;#ASMSTART
	v_dot2_f32_f16 v51, v60, v56, v51
	;;#ASMEND
	;;#ASMSTART
	v_dot2_f32_f16 v51, v61, v57, v51
	;;#ASMEND
	s_waitcnt lgkmcnt(0)
	;;#ASMSTART
	v_dot2_f32_f16 v49, v58, v66, v49
	;;#ASMEND
	;;#ASMSTART
	v_dot2_f32_f16 v49, v59, v67, v49
	;;#ASMEND
	;;#ASMSTART
	v_dot2_f32_f16 v49, v60, v68, v49
	;;#ASMEND
	;;#ASMSTART
	v_dot2_f32_f16 v49, v61, v69, v49
	;;#ASMEND
	;;#ASMSTART
	v_dot2_f32_f16 v52, v62, v54, v52
	;;#ASMEND
	;;#ASMSTART
	v_dot2_f32_f16 v52, v63, v55, v52
	;;#ASMEND
	;;#ASMSTART
	v_dot2_f32_f16 v52, v64, v56, v52
	;;#ASMEND
	;;#ASMSTART
	v_dot2_f32_f16 v52, v65, v57, v52
	;;#ASMEND
	;;#ASMSTART
	v_dot2_f32_f16 v50, v62, v66, v50
	;;#ASMEND
	;;#ASMSTART
	v_dot2_f32_f16 v50, v63, v67, v50
	;;#ASMEND
	;;#ASMSTART
	v_dot2_f32_f16 v50, v64, v68, v50
	;;#ASMEND
	;;#ASMSTART
	v_dot2_f32_f16 v50, v65, v69, v50
	;;#ASMEND
	ds_read_b128 v[54:57], v30 offset:528
	ds_read_b128 v[58:61], v25 offset:16400
	ds_read_b128 v[62:65], v25 offset:21008
	ds_read_b128 v[66:69], v30 offset:1552
	s_waitcnt lgkmcnt(2)
	;;#ASMSTART
	v_dot2_f32_f16 v51, v58, v54, v51
	;;#ASMEND
	;;#ASMSTART
	v_dot2_f32_f16 v51, v59, v55, v51
	;;#ASMEND
	;;#ASMSTART
	v_dot2_f32_f16 v51, v60, v56, v51
	;;#ASMEND
	;;#ASMSTART
	v_dot2_f32_f16 v51, v61, v57, v51
	;;#ASMEND
	s_waitcnt lgkmcnt(0)
	;;#ASMSTART
	v_dot2_f32_f16 v49, v58, v66, v49
	;;#ASMEND
	;;#ASMSTART
	v_dot2_f32_f16 v49, v59, v67, v49
	;;#ASMEND
	;;#ASMSTART
	v_dot2_f32_f16 v49, v60, v68, v49
	;;#ASMEND
	;;#ASMSTART
	v_dot2_f32_f16 v49, v61, v69, v49
	;;#ASMEND
	;;#ASMSTART
	v_dot2_f32_f16 v52, v62, v54, v52
	;;#ASMEND
	;;#ASMSTART
	v_dot2_f32_f16 v52, v63, v55, v52
	;;#ASMEND
	;;#ASMSTART
	v_dot2_f32_f16 v52, v64, v56, v52
	;;#ASMEND
	;;#ASMSTART
	v_dot2_f32_f16 v52, v65, v57, v52
	;;#ASMEND
	;;#ASMSTART
	v_dot2_f32_f16 v50, v62, v66, v50
	;;#ASMEND
	;;#ASMSTART
	v_dot2_f32_f16 v50, v63, v67, v50
	;;#ASMEND
	;;#ASMSTART
	v_dot2_f32_f16 v50, v64, v68, v50
	;;#ASMEND
	;;#ASMSTART
	v_dot2_f32_f16 v50, v65, v69, v50
	;;#ASMEND
	;; [unrolled: 54-line block ×8, first 2 shown]
	s_barrier
	global_load_dwordx4 v[54:57], v[26:27], off offset:640
	global_load_dwordx4 v[58:61], v[28:29], off offset:640
	s_waitcnt vmcnt(1)
	ds_write_b128 v21, v[54:57]
	s_waitcnt vmcnt(0)
	ds_write_b128 v23, v[58:61]
	s_waitcnt lgkmcnt(0)
	s_barrier
	ds_read_b128 v[54:57], v30 offset:640
	ds_read_b128 v[58:61], v25 offset:16384
	ds_read_b128 v[62:65], v25 offset:20992
	ds_read_b128 v[66:69], v30 offset:1664
	s_waitcnt lgkmcnt(2)
	;;#ASMSTART
	v_dot2_f32_f16 v51, v58, v54, v51
	;;#ASMEND
	;;#ASMSTART
	v_dot2_f32_f16 v51, v59, v55, v51
	;;#ASMEND
	;;#ASMSTART
	v_dot2_f32_f16 v51, v60, v56, v51
	;;#ASMEND
	;;#ASMSTART
	v_dot2_f32_f16 v51, v61, v57, v51
	;;#ASMEND
	s_waitcnt lgkmcnt(0)
	;;#ASMSTART
	v_dot2_f32_f16 v49, v58, v66, v49
	;;#ASMEND
	;;#ASMSTART
	v_dot2_f32_f16 v49, v59, v67, v49
	;;#ASMEND
	;;#ASMSTART
	v_dot2_f32_f16 v49, v60, v68, v49
	;;#ASMEND
	;;#ASMSTART
	v_dot2_f32_f16 v49, v61, v69, v49
	;;#ASMEND
	;;#ASMSTART
	v_dot2_f32_f16 v52, v62, v54, v52
	;;#ASMEND
	;;#ASMSTART
	v_dot2_f32_f16 v52, v63, v55, v52
	;;#ASMEND
	;;#ASMSTART
	v_dot2_f32_f16 v52, v64, v56, v52
	;;#ASMEND
	;;#ASMSTART
	v_dot2_f32_f16 v52, v65, v57, v52
	;;#ASMEND
	;;#ASMSTART
	v_dot2_f32_f16 v50, v62, v66, v50
	;;#ASMEND
	;;#ASMSTART
	v_dot2_f32_f16 v50, v63, v67, v50
	;;#ASMEND
	;;#ASMSTART
	v_dot2_f32_f16 v50, v64, v68, v50
	;;#ASMEND
	;;#ASMSTART
	v_dot2_f32_f16 v50, v65, v69, v50
	;;#ASMEND
	ds_read_b128 v[54:57], v30 offset:656
	ds_read_b128 v[58:61], v25 offset:16400
	ds_read_b128 v[62:65], v25 offset:21008
	ds_read_b128 v[66:69], v30 offset:1680
	s_waitcnt lgkmcnt(2)
	;;#ASMSTART
	v_dot2_f32_f16 v51, v58, v54, v51
	;;#ASMEND
	;;#ASMSTART
	v_dot2_f32_f16 v51, v59, v55, v51
	;;#ASMEND
	;;#ASMSTART
	v_dot2_f32_f16 v51, v60, v56, v51
	;;#ASMEND
	;;#ASMSTART
	v_dot2_f32_f16 v51, v61, v57, v51
	;;#ASMEND
	s_waitcnt lgkmcnt(0)
	;;#ASMSTART
	v_dot2_f32_f16 v49, v58, v66, v49
	;;#ASMEND
	;;#ASMSTART
	v_dot2_f32_f16 v49, v59, v67, v49
	;;#ASMEND
	;;#ASMSTART
	v_dot2_f32_f16 v49, v60, v68, v49
	;;#ASMEND
	;;#ASMSTART
	v_dot2_f32_f16 v49, v61, v69, v49
	;;#ASMEND
	;;#ASMSTART
	v_dot2_f32_f16 v52, v62, v54, v52
	;;#ASMEND
	;;#ASMSTART
	v_dot2_f32_f16 v52, v63, v55, v52
	;;#ASMEND
	;;#ASMSTART
	v_dot2_f32_f16 v52, v64, v56, v52
	;;#ASMEND
	;;#ASMSTART
	v_dot2_f32_f16 v52, v65, v57, v52
	;;#ASMEND
	;;#ASMSTART
	v_dot2_f32_f16 v50, v62, v66, v50
	;;#ASMEND
	;;#ASMSTART
	v_dot2_f32_f16 v50, v63, v67, v50
	;;#ASMEND
	;;#ASMSTART
	v_dot2_f32_f16 v50, v64, v68, v50
	;;#ASMEND
	;;#ASMSTART
	v_dot2_f32_f16 v50, v65, v69, v50
	;;#ASMEND
	;; [unrolled: 54-line block ×8, first 2 shown]
	s_barrier
	global_load_dwordx4 v[54:57], v[26:27], off offset:768
	global_load_dwordx4 v[58:61], v[28:29], off offset:768
	s_waitcnt vmcnt(1)
	ds_write_b128 v21, v[54:57]
	s_waitcnt vmcnt(0)
	ds_write_b128 v23, v[58:61]
	s_waitcnt lgkmcnt(0)
	s_barrier
	ds_read_b128 v[54:57], v30 offset:768
	ds_read_b128 v[58:61], v25 offset:16384
	ds_read_b128 v[62:65], v25 offset:20992
	ds_read_b128 v[66:69], v30 offset:1792
	s_waitcnt lgkmcnt(2)
	;;#ASMSTART
	v_dot2_f32_f16 v51, v58, v54, v51
	;;#ASMEND
	;;#ASMSTART
	v_dot2_f32_f16 v51, v59, v55, v51
	;;#ASMEND
	;;#ASMSTART
	v_dot2_f32_f16 v51, v60, v56, v51
	;;#ASMEND
	;;#ASMSTART
	v_dot2_f32_f16 v51, v61, v57, v51
	;;#ASMEND
	s_waitcnt lgkmcnt(0)
	;;#ASMSTART
	v_dot2_f32_f16 v49, v58, v66, v49
	;;#ASMEND
	;;#ASMSTART
	v_dot2_f32_f16 v49, v59, v67, v49
	;;#ASMEND
	;;#ASMSTART
	v_dot2_f32_f16 v49, v60, v68, v49
	;;#ASMEND
	;;#ASMSTART
	v_dot2_f32_f16 v49, v61, v69, v49
	;;#ASMEND
	;;#ASMSTART
	v_dot2_f32_f16 v52, v62, v54, v52
	;;#ASMEND
	;;#ASMSTART
	v_dot2_f32_f16 v52, v63, v55, v52
	;;#ASMEND
	;;#ASMSTART
	v_dot2_f32_f16 v52, v64, v56, v52
	;;#ASMEND
	;;#ASMSTART
	v_dot2_f32_f16 v52, v65, v57, v52
	;;#ASMEND
	;;#ASMSTART
	v_dot2_f32_f16 v50, v62, v66, v50
	;;#ASMEND
	;;#ASMSTART
	v_dot2_f32_f16 v50, v63, v67, v50
	;;#ASMEND
	;;#ASMSTART
	v_dot2_f32_f16 v50, v64, v68, v50
	;;#ASMEND
	;;#ASMSTART
	v_dot2_f32_f16 v50, v65, v69, v50
	;;#ASMEND
	ds_read_b128 v[54:57], v30 offset:784
	ds_read_b128 v[58:61], v25 offset:16400
	ds_read_b128 v[62:65], v25 offset:21008
	ds_read_b128 v[66:69], v30 offset:1808
	s_waitcnt lgkmcnt(2)
	;;#ASMSTART
	v_dot2_f32_f16 v51, v58, v54, v51
	;;#ASMEND
	;;#ASMSTART
	v_dot2_f32_f16 v51, v59, v55, v51
	;;#ASMEND
	;;#ASMSTART
	v_dot2_f32_f16 v51, v60, v56, v51
	;;#ASMEND
	;;#ASMSTART
	v_dot2_f32_f16 v51, v61, v57, v51
	;;#ASMEND
	s_waitcnt lgkmcnt(0)
	;;#ASMSTART
	v_dot2_f32_f16 v49, v58, v66, v49
	;;#ASMEND
	;;#ASMSTART
	v_dot2_f32_f16 v49, v59, v67, v49
	;;#ASMEND
	;;#ASMSTART
	v_dot2_f32_f16 v49, v60, v68, v49
	;;#ASMEND
	;;#ASMSTART
	v_dot2_f32_f16 v49, v61, v69, v49
	;;#ASMEND
	;;#ASMSTART
	v_dot2_f32_f16 v52, v62, v54, v52
	;;#ASMEND
	;;#ASMSTART
	v_dot2_f32_f16 v52, v63, v55, v52
	;;#ASMEND
	;;#ASMSTART
	v_dot2_f32_f16 v52, v64, v56, v52
	;;#ASMEND
	;;#ASMSTART
	v_dot2_f32_f16 v52, v65, v57, v52
	;;#ASMEND
	;;#ASMSTART
	v_dot2_f32_f16 v50, v62, v66, v50
	;;#ASMEND
	;;#ASMSTART
	v_dot2_f32_f16 v50, v63, v67, v50
	;;#ASMEND
	;;#ASMSTART
	v_dot2_f32_f16 v50, v64, v68, v50
	;;#ASMEND
	;;#ASMSTART
	v_dot2_f32_f16 v50, v65, v69, v50
	;;#ASMEND
	;; [unrolled: 54-line block ×8, first 2 shown]
	s_barrier
	global_load_dwordx4 v[54:57], v[26:27], off offset:896
	global_load_dwordx4 v[58:61], v[28:29], off offset:896
	s_waitcnt vmcnt(1)
	ds_write_b128 v21, v[54:57]
	s_waitcnt vmcnt(0)
	ds_write_b128 v23, v[58:61]
	s_waitcnt lgkmcnt(0)
	s_barrier
	ds_read_b128 v[26:29], v30 offset:896
	ds_read_b128 v[54:57], v25 offset:16384
	ds_read_b128 v[58:61], v25 offset:20992
	ds_read_b128 v[62:65], v30 offset:1920
	s_waitcnt lgkmcnt(2)
	;;#ASMSTART
	v_dot2_f32_f16 v51, v54, v26, v51
	;;#ASMEND
	;;#ASMSTART
	v_dot2_f32_f16 v51, v55, v27, v51
	;;#ASMEND
	;;#ASMSTART
	v_dot2_f32_f16 v51, v56, v28, v51
	;;#ASMEND
	;;#ASMSTART
	v_dot2_f32_f16 v51, v57, v29, v51
	;;#ASMEND
	s_waitcnt lgkmcnt(0)
	;;#ASMSTART
	v_dot2_f32_f16 v49, v54, v62, v49
	;;#ASMEND
	;;#ASMSTART
	v_dot2_f32_f16 v49, v55, v63, v49
	;;#ASMEND
	;;#ASMSTART
	v_dot2_f32_f16 v49, v56, v64, v49
	;;#ASMEND
	;;#ASMSTART
	v_dot2_f32_f16 v49, v57, v65, v49
	;;#ASMEND
	;;#ASMSTART
	v_dot2_f32_f16 v52, v58, v26, v52
	;;#ASMEND
	;;#ASMSTART
	v_dot2_f32_f16 v52, v59, v27, v52
	;;#ASMEND
	;;#ASMSTART
	v_dot2_f32_f16 v52, v60, v28, v52
	;;#ASMEND
	;;#ASMSTART
	v_dot2_f32_f16 v52, v61, v29, v52
	;;#ASMEND
	;;#ASMSTART
	v_dot2_f32_f16 v50, v58, v62, v50
	;;#ASMEND
	;;#ASMSTART
	v_dot2_f32_f16 v50, v59, v63, v50
	;;#ASMEND
	;;#ASMSTART
	v_dot2_f32_f16 v50, v60, v64, v50
	;;#ASMEND
	;;#ASMSTART
	v_dot2_f32_f16 v50, v61, v65, v50
	;;#ASMEND
	ds_read_b128 v[26:29], v30 offset:912
	ds_read_b128 v[54:57], v25 offset:16400
	ds_read_b128 v[58:61], v25 offset:21008
	ds_read_b128 v[62:65], v30 offset:1936
	s_waitcnt lgkmcnt(2)
	;;#ASMSTART
	v_dot2_f32_f16 v51, v54, v26, v51
	;;#ASMEND
	;;#ASMSTART
	v_dot2_f32_f16 v51, v55, v27, v51
	;;#ASMEND
	;;#ASMSTART
	v_dot2_f32_f16 v51, v56, v28, v51
	;;#ASMEND
	;;#ASMSTART
	v_dot2_f32_f16 v51, v57, v29, v51
	;;#ASMEND
	s_waitcnt lgkmcnt(0)
	;;#ASMSTART
	v_dot2_f32_f16 v49, v54, v62, v49
	;;#ASMEND
	;;#ASMSTART
	v_dot2_f32_f16 v49, v55, v63, v49
	;;#ASMEND
	;;#ASMSTART
	v_dot2_f32_f16 v49, v56, v64, v49
	;;#ASMEND
	;;#ASMSTART
	v_dot2_f32_f16 v49, v57, v65, v49
	;;#ASMEND
	;;#ASMSTART
	v_dot2_f32_f16 v52, v58, v26, v52
	;;#ASMEND
	;;#ASMSTART
	v_dot2_f32_f16 v52, v59, v27, v52
	;;#ASMEND
	;;#ASMSTART
	v_dot2_f32_f16 v52, v60, v28, v52
	;;#ASMEND
	;;#ASMSTART
	v_dot2_f32_f16 v52, v61, v29, v52
	;;#ASMEND
	;;#ASMSTART
	v_dot2_f32_f16 v50, v58, v62, v50
	;;#ASMEND
	;;#ASMSTART
	v_dot2_f32_f16 v50, v59, v63, v50
	;;#ASMEND
	;;#ASMSTART
	v_dot2_f32_f16 v50, v60, v64, v50
	;;#ASMEND
	;;#ASMSTART
	v_dot2_f32_f16 v50, v61, v65, v50
	;;#ASMEND
	;; [unrolled: 54-line block ×7, first 2 shown]
	ds_read_b128 v[26:29], v30 offset:1008
	ds_read_b128 v[54:57], v25 offset:16496
	;; [unrolled: 1-line block ×4, first 2 shown]
	s_waitcnt lgkmcnt(2)
	;;#ASMSTART
	v_dot2_f32_f16 v51, v54, v26, v51
	;;#ASMEND
	;;#ASMSTART
	v_dot2_f32_f16 v51, v55, v27, v51
	;;#ASMEND
	;; [unrolled: 3-line block ×4, first 2 shown]
	s_waitcnt lgkmcnt(0)
	;;#ASMSTART
	v_dot2_f32_f16 v49, v54, v62, v49
	;;#ASMEND
	;;#ASMSTART
	v_dot2_f32_f16 v49, v55, v63, v49
	;;#ASMEND
	;; [unrolled: 3-line block ×11, first 2 shown]
	v_cmp_nlt_f32_e64 s[10:11], |v51|, s12
	;;#ASMSTART
	v_dot2_f32_f16 v50, v61, v65, v50
	;;#ASMEND
                                        ; implicit-def: $vgpr28
	s_and_saveexec_b64 s[34:35], s[10:11]
	s_xor_b64 s[10:11], exec, s[34:35]
	s_cbranch_execz .LBB27_12
; %bb.11:                               ;   in Loop: Header=BB27_10 Depth=1
	v_add_f32_e64 v26, |v51|, |v51|
	v_mul_f32_e32 v27, 0x3fb8aa3b, v26
	v_rndne_f32_e32 v28, v27
	v_sub_f32_e32 v29, v27, v28
	v_fma_f32 v27, v26, s13, -v27
	v_fmac_f32_e32 v27, 0x32a5705f, v26
	v_add_f32_e32 v27, v29, v27
	v_cvt_i32_f32_e32 v28, v28
	v_exp_f32_e32 v27, v27
	v_cmp_ngt_f32_e32 vcc, s24, v26
	v_ldexp_f32 v27, v27, v28
	v_cndmask_b32_e32 v27, 0, v27, vcc
	v_cmp_nlt_f32_e32 vcc, s25, v26
	v_cndmask_b32_e32 v26, v41, v27, vcc
	v_add_f32_e32 v26, 1.0, v26
	v_rcp_f32_e32 v26, v26
	v_fma_f32 v28, v26, -2.0, 1.0
.LBB27_12:                              ;   in Loop: Header=BB27_10 Depth=1
	s_andn2_saveexec_b64 s[10:11], s[10:11]
; %bb.13:                               ;   in Loop: Header=BB27_10 Depth=1
	v_mul_f32_e32 v26, v51, v51
	v_mov_b32_e32 v27, 0x3ca908c9
	v_fmac_f32_e32 v27, 0xbbbac73d, v26
	v_fma_f32 v27, v26, v27, v38
	v_fma_f32 v27, v26, v27, v39
	;; [unrolled: 1-line block ×3, first 2 shown]
	v_mul_f32_e64 v27, |v51|, v27
	v_fma_f32 v28, v26, v27, |v51|
; %bb.14:                               ;   in Loop: Header=BB27_10 Depth=1
	s_or_b64 exec, exec, s[10:11]
	v_add_u32_e32 v26, s6, v10
	v_ashrrev_i32_e32 v27, 31, v26
	v_lshlrev_b64 v[26:27], 1, v[26:27]
	v_mov_b32_e32 v29, s31
	v_add_co_u32_e32 v26, vcc, s30, v26
	v_addc_co_u32_e32 v27, vcc, v29, v27, vcc
	flat_load_ushort v55, v[26:27]
	v_cmp_nlt_f32_e64 s[10:11], |v52|, s12
                                        ; implicit-def: $vgpr29
	s_and_saveexec_b64 s[34:35], s[10:11]
	s_xor_b64 s[10:11], exec, s[34:35]
	s_cbranch_execz .LBB27_16
; %bb.15:                               ;   in Loop: Header=BB27_10 Depth=1
	v_add_f32_e64 v29, |v52|, |v52|
	v_mul_f32_e32 v53, 0x3fb8aa3b, v29
	v_rndne_f32_e32 v54, v53
	v_sub_f32_e32 v56, v53, v54
	v_fma_f32 v53, v29, s13, -v53
	v_fmac_f32_e32 v53, 0x32a5705f, v29
	v_add_f32_e32 v53, v56, v53
	v_cvt_i32_f32_e32 v54, v54
	v_exp_f32_e32 v53, v53
	v_cmp_ngt_f32_e32 vcc, s24, v29
	v_ldexp_f32 v53, v53, v54
	v_cndmask_b32_e32 v53, 0, v53, vcc
	v_cmp_nlt_f32_e32 vcc, s25, v29
	v_cndmask_b32_e32 v29, v41, v53, vcc
	v_add_f32_e32 v29, 1.0, v29
	v_rcp_f32_e32 v29, v29
	v_fma_f32 v29, v29, -2.0, 1.0
.LBB27_16:                              ;   in Loop: Header=BB27_10 Depth=1
	s_andn2_saveexec_b64 s[10:11], s[10:11]
; %bb.17:                               ;   in Loop: Header=BB27_10 Depth=1
	v_mul_f32_e32 v29, v52, v52
	v_mov_b32_e32 v53, 0x3ca908c9
	v_fmac_f32_e32 v53, 0xbbbac73d, v29
	v_fma_f32 v53, v29, v53, v38
	v_fma_f32 v53, v29, v53, v39
	;; [unrolled: 1-line block ×3, first 2 shown]
	v_mul_f32_e64 v53, |v52|, v53
	v_fma_f32 v29, v29, v53, |v52|
; %bb.18:                               ;   in Loop: Header=BB27_10 Depth=1
	s_or_b64 exec, exec, s[10:11]
	flat_load_ushort v59, v[26:27] offset:64
	v_and_b32_e32 v27, 0x60, v11
	v_bfi_b32 v26, s26, v28, v51
	v_add_u32_e32 v28, 32, v27
	v_xor_b32_e32 v54, 16, v11
	v_cmp_lt_i32_e32 vcc, v54, v28
	v_cndmask_b32_e32 v27, v11, v54, vcc
	v_lshlrev_b32_e32 v56, 2, v27
	v_bfi_b32 v27, s26, v29, v52
	s_waitcnt vmcnt(0) lgkmcnt(0)
	v_fma_mix_f32 v26, v26, s0, v55 op_sel_hi:[0,0,1]
	v_add_f32_e32 v51, 0x40051340, v26
	v_cmp_nlt_f32_e64 s[10:11], |v49|, s12
                                        ; implicit-def: $vgpr64
	v_fma_mix_f32 v27, v27, s0, v59 op_sel_hi:[0,0,1]
	v_add_f32_e32 v29, 0x40051340, v27
	v_max3_f32 v51, v6, v51, v29
	ds_bpermute_b32 v52, v56, v51
	v_xor_b32_e32 v29, 8, v11
	v_cmp_lt_i32_e32 vcc, v29, v28
	v_cndmask_b32_e32 v53, v11, v29, vcc
	v_lshlrev_b32_e32 v57, 2, v53
	s_waitcnt lgkmcnt(0)
	v_max_f32_e32 v52, v52, v52
	v_max_f32_e32 v52, v51, v52
	ds_bpermute_b32 v53, v57, v52
	v_xor_b32_e32 v51, 4, v11
	v_cmp_lt_i32_e32 vcc, v51, v28
	v_cndmask_b32_e32 v58, v11, v51, vcc
	v_lshlrev_b32_e32 v58, 2, v58
	s_waitcnt lgkmcnt(0)
	v_max_f32_e32 v53, v53, v53
	v_max_f32_e32 v53, v52, v53
	;; [unrolled: 8-line block ×4, first 2 shown]
	ds_bpermute_b32 v62, v63, v60
	s_and_saveexec_b64 s[34:35], s[10:11]
	s_xor_b64 s[10:11], exec, s[34:35]
	s_cbranch_execz .LBB27_20
; %bb.19:                               ;   in Loop: Header=BB27_10 Depth=1
	v_add_f32_e64 v64, |v49|, |v49|
	v_mul_f32_e32 v65, 0x3fb8aa3b, v64
	v_rndne_f32_e32 v66, v65
	v_sub_f32_e32 v67, v65, v66
	v_fma_f32 v65, v64, s13, -v65
	v_fmac_f32_e32 v65, 0x32a5705f, v64
	v_add_f32_e32 v65, v67, v65
	v_cvt_i32_f32_e32 v66, v66
	v_exp_f32_e32 v65, v65
	v_cmp_ngt_f32_e32 vcc, s24, v64
	v_ldexp_f32 v65, v65, v66
	v_cndmask_b32_e32 v65, 0, v65, vcc
	v_cmp_nlt_f32_e32 vcc, s25, v64
	v_cndmask_b32_e32 v64, v41, v65, vcc
	v_add_f32_e32 v64, 1.0, v64
	v_rcp_f32_e32 v64, v64
	v_fma_f32 v64, v64, -2.0, 1.0
.LBB27_20:                              ;   in Loop: Header=BB27_10 Depth=1
	s_andn2_saveexec_b64 s[10:11], s[10:11]
; %bb.21:                               ;   in Loop: Header=BB27_10 Depth=1
	v_mul_f32_e32 v64, v49, v49
	v_mov_b32_e32 v65, 0x3ca908c9
	v_fmac_f32_e32 v65, 0xbbbac73d, v64
	v_fma_f32 v65, v64, v65, v38
	v_fma_f32 v65, v64, v65, v39
	;; [unrolled: 1-line block ×3, first 2 shown]
	v_mul_f32_e64 v65, |v49|, v65
	v_fma_f32 v64, v64, v65, |v49|
; %bb.22:                               ;   in Loop: Header=BB27_10 Depth=1
	s_or_b64 exec, exec, s[10:11]
	v_cmp_nlt_f32_e64 s[10:11], |v50|, s12
                                        ; implicit-def: $vgpr65
	s_and_saveexec_b64 s[34:35], s[10:11]
	s_xor_b64 s[10:11], exec, s[34:35]
	s_cbranch_execz .LBB27_24
; %bb.23:                               ;   in Loop: Header=BB27_10 Depth=1
	v_add_f32_e64 v65, |v50|, |v50|
	v_mul_f32_e32 v66, 0x3fb8aa3b, v65
	v_rndne_f32_e32 v67, v66
	v_sub_f32_e32 v68, v66, v67
	v_fma_f32 v66, v65, s13, -v66
	v_fmac_f32_e32 v66, 0x32a5705f, v65
	v_add_f32_e32 v66, v68, v66
	v_cvt_i32_f32_e32 v67, v67
	v_exp_f32_e32 v66, v66
	v_cmp_ngt_f32_e32 vcc, s24, v65
	v_ldexp_f32 v66, v66, v67
	v_cndmask_b32_e32 v66, 0, v66, vcc
	v_cmp_nlt_f32_e32 vcc, s25, v65
	v_cndmask_b32_e32 v65, v41, v66, vcc
	v_add_f32_e32 v65, 1.0, v65
	v_rcp_f32_e32 v65, v65
	v_fma_f32 v65, v65, -2.0, 1.0
.LBB27_24:                              ;   in Loop: Header=BB27_10 Depth=1
	s_andn2_saveexec_b64 s[10:11], s[10:11]
	s_cbranch_execz .LBB27_9
; %bb.25:                               ;   in Loop: Header=BB27_10 Depth=1
	v_mul_f32_e32 v65, v50, v50
	v_mov_b32_e32 v66, 0x3ca908c9
	v_fmac_f32_e32 v66, 0xbbbac73d, v65
	v_fma_f32 v66, v65, v66, v38
	v_fma_f32 v66, v65, v66, v39
	;; [unrolled: 1-line block ×3, first 2 shown]
	v_mul_f32_e64 v66, |v50|, v66
	v_fma_f32 v65, v65, v66, |v50|
	s_branch .LBB27_9
.LBB27_26:
	v_cmp_lt_i32_e32 vcc, v54, v28
	v_cndmask_b32_e32 v10, v11, v54, vcc
	v_lshlrev_b32_e32 v10, 2, v10
	ds_bpermute_b32 v12, v10, v8
	ds_bpermute_b32 v13, v10, v9
	v_cmp_lt_i32_e32 vcc, v29, v28
	v_cndmask_b32_e32 v10, v11, v29, vcc
	v_lshlrev_b32_e32 v10, 2, v10
	v_cmp_lt_i32_e32 vcc, v51, v28
	s_waitcnt lgkmcnt(0)
	v_pk_add_f32 v[8:9], v[8:9], v[12:13]
	ds_bpermute_b32 v12, v10, v8
	ds_bpermute_b32 v13, v10, v9
	v_cndmask_b32_e32 v10, v11, v51, vcc
	v_lshlrev_b32_e32 v10, 2, v10
	v_cmp_lt_i32_e32 vcc, v52, v28
	s_cmp_lg_u64 s[16:17], 0
	s_waitcnt lgkmcnt(0)
	v_pk_add_f32 v[8:9], v[8:9], v[12:13]
	ds_bpermute_b32 v12, v10, v8
	ds_bpermute_b32 v13, v10, v9
	v_cndmask_b32_e32 v10, v11, v52, vcc
	v_lshlrev_b32_e32 v10, 2, v10
	v_cmp_lt_i32_e32 vcc, v53, v28
	s_cselect_b64 s[0:1], -1, 0
	s_waitcnt lgkmcnt(0)
	v_pk_add_f32 v[8:9], v[8:9], v[12:13]
	ds_bpermute_b32 v12, v10, v8
	ds_bpermute_b32 v13, v10, v9
	v_cndmask_b32_e32 v10, v11, v53, vcc
	v_lshlrev_b32_e32 v11, 2, v10
	s_cmp_eq_u32 s7, 0
	s_cselect_b64 s[8:9], -1, 0
	s_waitcnt lgkmcnt(0)
	v_pk_add_f32 v[8:9], v[8:9], v[12:13]
	ds_bpermute_b32 v10, v11, v8
	ds_bpermute_b32 v11, v11, v9
	s_and_b64 s[0:1], s[8:9], s[0:1]
	s_and_b64 vcc, exec, s[0:1]
	s_waitcnt lgkmcnt(0)
	v_pk_add_f32 v[8:9], v[8:9], v[10:11]
	s_cbranch_vccz .LBB27_28
; %bb.27:
	v_add_u32_e32 v10, s29, v17
	v_ashrrev_i32_e32 v11, 31, v10
	v_lshlrev_b64 v[10:11], 2, v[10:11]
	v_mov_b32_e32 v12, s17
	v_add_co_u32_e32 v10, vcc, s16, v10
	v_addc_co_u32_e32 v11, vcc, v12, v11, vcc
	global_load_dwordx2 v[10:11], v[10:11], off
	v_max_f32_e32 v12, v7, v7
	v_max_f32_e32 v14, v6, v6
	s_mov_b32 s0, 0x3fb8aa3b
	s_mov_b32 s1, 0xc2ce8ed0
	;; [unrolled: 1-line block ×3, first 2 shown]
	v_mov_b32_e32 v15, 0x7f800000
	s_waitcnt vmcnt(0)
	v_max_f32_e32 v13, v11, v11
	v_max_f32_e32 v21, v10, v10
	;; [unrolled: 1-line block ×4, first 2 shown]
	v_pk_add_f32 v[6:7], v[6:7], v[12:13] neg_lo:[0,1] neg_hi:[0,1]
	v_mul_f32_e32 v14, 0x3fb8aa3b, v7
	v_pk_add_f32 v[10:11], v[10:11], v[12:13] neg_lo:[0,1] neg_hi:[0,1]
	v_mul_f32_e32 v21, 0x3fb8aa3b, v6
	v_fma_f32 v26, v7, s0, -v14
	v_rndne_f32_e32 v27, v14
	v_mul_f32_e32 v23, 0x3fb8aa3b, v11
	v_fma_f32 v28, v6, s0, -v21
	v_rndne_f32_e32 v29, v21
	v_fmac_f32_e32 v26, 0x32a5705f, v7
	v_sub_f32_e32 v14, v14, v27
	v_mul_f32_e32 v25, 0x3fb8aa3b, v10
	v_fma_f32 v30, v11, s0, -v23
	v_rndne_f32_e32 v31, v23
	v_fmac_f32_e32 v28, 0x32a5705f, v6
	v_sub_f32_e32 v21, v21, v29
	v_add_f32_e32 v14, v14, v26
	v_fma_f32 v32, v10, s0, -v25
	v_rndne_f32_e32 v33, v25
	v_cvt_i32_f32_e32 v27, v27
	v_fmac_f32_e32 v30, 0x32a5705f, v11
	v_sub_f32_e32 v23, v23, v31
	v_add_f32_e32 v21, v21, v28
	v_exp_f32_e32 v14, v14
	v_cvt_i32_f32_e32 v29, v29
	v_fmac_f32_e32 v32, 0x32a5705f, v10
	v_sub_f32_e32 v25, v25, v33
	v_add_f32_e32 v23, v23, v30
	v_exp_f32_e32 v21, v21
	v_cvt_i32_f32_e32 v31, v31
	v_add_f32_e32 v25, v25, v32
	v_exp_f32_e32 v23, v23
	v_cvt_i32_f32_e32 v33, v33
	v_exp_f32_e32 v25, v25
	v_ldexp_f32 v14, v14, v27
	v_cmp_ngt_f32_e32 vcc, s1, v7
	v_ldexp_f32 v21, v21, v29
	v_cndmask_b32_e32 v14, 0, v14, vcc
	v_cmp_ngt_f32_e32 vcc, s1, v6
	v_ldexp_f32 v23, v23, v31
	v_cndmask_b32_e32 v21, 0, v21, vcc
	;; [unrolled: 3-line block ×3, first 2 shown]
	v_cmp_ngt_f32_e32 vcc, s1, v10
	v_cndmask_b32_e32 v25, 0, v25, vcc
	v_cmp_nlt_f32_e32 vcc, s6, v7
	v_cndmask_b32_e32 v7, v15, v14, vcc
	v_cmp_nlt_f32_e32 vcc, s6, v6
	;; [unrolled: 2-line block ×4, first 2 shown]
	v_cndmask_b32_e32 v10, v15, v25, vcc
	v_cvt_f16_f32_e32 v14, v6
	v_pk_fma_f32 v[8:9], v[8:9], v[6:7], v[10:11]
	v_cvt_f16_f32_e32 v6, v7
	v_pk_mul_f16 v47, v14, v47 op_sel_hi:[0,1]
	v_pk_mul_f16 v22, v14, v22 op_sel_hi:[0,1]
	;; [unrolled: 1-line block ×16, first 2 shown]
	v_pk_mov_b32 v[6:7], v[12:13], v[12:13] op_sel:[0,1]
.LBB27_28:
	v_cmp_gt_i32_e32 vcc, s2, v5
	s_and_saveexec_b64 s[0:1], vcc
	s_cbranch_execz .LBB27_37
; %bb.29:
	s_load_dword s6, s[4:5], 0xd4
	v_mov_b32_e32 v10, 1.0
	s_waitcnt lgkmcnt(0)
	s_cmp_lg_u32 s6, 1
	s_cselect_b64 s[0:1], -1, 0
	s_cmp_eq_u32 s6, 1
	s_cselect_b64 s[4:5], -1, 0
	s_and_b64 vcc, exec, s[0:1]
	s_cbranch_vccnz .LBB27_31
; %bb.30:
	v_div_scale_f32 v10, s[8:9], v8, v8, 1.0
	v_rcp_f32_e32 v11, v10
	v_div_scale_f32 v12, vcc, 1.0, v8, 1.0
	v_fma_f32 v13, -v10, v11, 1.0
	v_fmac_f32_e32 v11, v13, v11
	v_mul_f32_e32 v13, v12, v11
	v_fma_f32 v14, -v10, v13, v12
	v_fmac_f32_e32 v13, v14, v11
	v_fma_f32 v10, -v10, v13, v12
	v_div_fmas_f32 v10, v10, v11, v13
	v_div_fixup_f32 v10, v10, v8, 1.0
.LBB27_31:
	s_mul_i32 s33, s33, s2
	v_add_u32_e32 v5, s33, v5
	v_mul_lo_u32 v5, v5, s3
	v_add3_u32 v5, s29, v17, v5
	v_cmp_eq_u32_e32 vcc, 0, v4
	v_mul_lo_u32 v4, s6, v5
	v_add_u32_e32 v4, s7, v4
	v_cvt_f32_f16_sdwa v15, v47 dst_sel:DWORD dst_unused:UNUSED_PAD src0_sel:WORD_1
	v_cvt_f32_f16_e32 v14, v47
	v_cvt_f32_f16_sdwa v23, v22 dst_sel:DWORD dst_unused:UNUSED_PAD src0_sel:WORD_1
	v_cvt_f32_f16_e32 v22, v22
	v_lshl_add_u32 v26, v4, 9, v19
	v_mov_b32_e32 v27, 0
	v_lshlrev_b64 v[12:13], 2, v[26:27]
	s_and_b64 s[0:1], vcc, s[0:1]
	v_mov_b32_e32 v5, s21
	v_add_co_u32_e32 v28, vcc, s20, v12
	v_addc_co_u32_e32 v29, vcc, v5, v13, vcc
	v_pk_mul_f32 v[12:13], v[10:11], v[14:15] op_sel_hi:[0,1]
	v_pk_mul_f32 v[14:15], v[10:11], v[22:23] op_sel_hi:[0,1]
	global_store_dwordx4 v[28:29], v[12:15], off
	v_cvt_f32_f16_sdwa v23, v24 dst_sel:DWORD dst_unused:UNUSED_PAD src0_sel:WORD_1
	v_cvt_f32_f16_sdwa v15, v48 dst_sel:DWORD dst_unused:UNUSED_PAD src0_sel:WORD_1
	v_cvt_f32_f16_e32 v14, v48
	v_cvt_f32_f16_e32 v22, v24
	v_add_u32_e32 v12, 0x80, v26
	v_mov_b32_e32 v13, v27
	v_lshlrev_b64 v[12:13], 2, v[12:13]
	v_add_co_u32_e32 v24, vcc, s20, v12
	v_addc_co_u32_e32 v25, vcc, v5, v13, vcc
	v_pk_mul_f32 v[12:13], v[10:11], v[14:15] op_sel_hi:[0,1]
	v_pk_mul_f32 v[14:15], v[10:11], v[22:23] op_sel_hi:[0,1]
	global_store_dwordx4 v[24:25], v[12:15], off
	v_cvt_f32_f16_sdwa v21, v20 dst_sel:DWORD dst_unused:UNUSED_PAD src0_sel:WORD_1
	v_cvt_f32_f16_sdwa v15, v46 dst_sel:DWORD dst_unused:UNUSED_PAD src0_sel:WORD_1
	v_cvt_f32_f16_e32 v14, v46
	v_cvt_f32_f16_e32 v20, v20
	v_add_u32_e32 v12, 0x100, v26
	v_mov_b32_e32 v13, v27
	v_lshlrev_b64 v[12:13], 2, v[12:13]
	v_add_co_u32_e32 v22, vcc, s20, v12
	v_addc_co_u32_e32 v23, vcc, v5, v13, vcc
	v_pk_mul_f32 v[12:13], v[10:11], v[14:15] op_sel_hi:[0,1]
	v_pk_mul_f32 v[14:15], v[10:11], v[20:21] op_sel_hi:[0,1]
	global_store_dwordx4 v[22:23], v[12:15], off
	v_cvt_f32_f16_sdwa v21, v18 dst_sel:DWORD dst_unused:UNUSED_PAD src0_sel:WORD_1
	v_cvt_f32_f16_sdwa v15, v45 dst_sel:DWORD dst_unused:UNUSED_PAD src0_sel:WORD_1
	v_cvt_f32_f16_e32 v14, v45
	v_cvt_f32_f16_e32 v20, v18
	v_add_u32_e32 v26, 0x180, v26
	v_lshlrev_b64 v[12:13], 2, v[26:27]
	v_add_co_u32_e32 v22, vcc, s20, v12
	v_addc_co_u32_e32 v23, vcc, v5, v13, vcc
	v_pk_mul_f32 v[12:13], v[10:11], v[14:15] op_sel_hi:[0,1]
	v_pk_mul_f32 v[14:15], v[10:11], v[20:21] op_sel_hi:[0,1]
	global_store_dwordx4 v[22:23], v[12:15], off
	s_and_saveexec_b64 s[2:3], s[0:1]
	s_cbranch_execz .LBB27_33
; %bb.32:
	v_ashrrev_i32_e32 v5, 31, v4
	v_lshlrev_b64 v[10:11], 3, v[4:5]
	v_mov_b32_e32 v5, s23
	v_add_co_u32_e32 v10, vcc, s22, v10
	v_addc_co_u32_e32 v11, vcc, v5, v11, vcc
	v_mov_b32_e32 v12, v6
	v_mov_b32_e32 v13, v8
	global_store_dwordx2 v[10:11], v[12:13], off
.LBB27_33:
	s_or_b64 exec, exec, s[2:3]
	s_andn2_b64 vcc, exec, s[4:5]
	v_mov_b32_e32 v6, 1.0
	s_cbranch_vccnz .LBB27_35
; %bb.34:
	v_div_scale_f32 v5, s[2:3], v9, v9, 1.0
	v_rcp_f32_e32 v6, v5
	v_div_scale_f32 v8, vcc, 1.0, v9, 1.0
	v_fma_f32 v10, -v5, v6, 1.0
	v_fmac_f32_e32 v6, v10, v6
	v_mul_f32_e32 v10, v8, v6
	v_fma_f32 v11, -v5, v10, v8
	v_fmac_f32_e32 v10, v11, v6
	v_fma_f32 v5, -v5, v10, v8
	v_div_fmas_f32 v5, v5, v6, v10
	v_div_fixup_f32 v6, v5, v9, 1.0
.LBB27_35:
	v_add_u32_e32 v4, s6, v4
	v_cvt_f32_f16_sdwa v13, v44 dst_sel:DWORD dst_unused:UNUSED_PAD src0_sel:WORD_1
	v_cvt_f32_f16_e32 v12, v44
	v_cvt_f32_f16_sdwa v17, v16 dst_sel:DWORD dst_unused:UNUSED_PAD src0_sel:WORD_1
	v_cvt_f32_f16_e32 v16, v16
	v_lshl_add_u32 v14, v4, 9, v19
	v_mov_b32_e32 v15, 0
	v_lshlrev_b64 v[10:11], 2, v[14:15]
	v_mov_b32_e32 v5, s21
	v_add_co_u32_e32 v18, vcc, s20, v10
	v_addc_co_u32_e32 v19, vcc, v5, v11, vcc
	v_pk_mul_f32 v[10:11], v[6:7], v[12:13] op_sel_hi:[0,1]
	v_pk_mul_f32 v[12:13], v[6:7], v[16:17] op_sel_hi:[0,1]
	global_store_dwordx4 v[18:19], v[10:13], off
	v_cvt_f32_f16_sdwa v17, v2 dst_sel:DWORD dst_unused:UNUSED_PAD src0_sel:WORD_1
	v_cvt_f32_f16_sdwa v13, v43 dst_sel:DWORD dst_unused:UNUSED_PAD src0_sel:WORD_1
	v_cvt_f32_f16_e32 v12, v43
	v_cvt_f32_f16_e32 v16, v2
	v_add_u32_e32 v10, 0x80, v14
	v_mov_b32_e32 v11, v15
	v_lshlrev_b64 v[10:11], 2, v[10:11]
	v_add_co_u32_e32 v18, vcc, s20, v10
	v_addc_co_u32_e32 v19, vcc, v5, v11, vcc
	v_pk_mul_f32 v[10:11], v[6:7], v[12:13] op_sel_hi:[0,1]
	v_pk_mul_f32 v[12:13], v[6:7], v[16:17] op_sel_hi:[0,1]
	global_store_dwordx4 v[18:19], v[10:13], off
	v_cvt_f32_f16_sdwa v17, v0 dst_sel:DWORD dst_unused:UNUSED_PAD src0_sel:WORD_1
	v_cvt_f32_f16_sdwa v13, v42 dst_sel:DWORD dst_unused:UNUSED_PAD src0_sel:WORD_1
	v_cvt_f32_f16_e32 v12, v42
	v_cvt_f32_f16_e32 v16, v0
	v_add_u32_e32 v10, 0x100, v14
	v_mov_b32_e32 v11, v15
	v_lshlrev_b64 v[10:11], 2, v[10:11]
	v_add_co_u32_e32 v18, vcc, s20, v10
	v_addc_co_u32_e32 v19, vcc, v5, v11, vcc
	v_pk_mul_f32 v[10:11], v[6:7], v[12:13] op_sel_hi:[0,1]
	v_pk_mul_f32 v[12:13], v[6:7], v[16:17] op_sel_hi:[0,1]
	global_store_dwordx4 v[18:19], v[10:13], off
	v_cvt_f32_f16_e32 v2, v1
	v_cvt_f32_f16_sdwa v13, v3 dst_sel:DWORD dst_unused:UNUSED_PAD src0_sel:WORD_1
	v_cvt_f32_f16_e32 v12, v3
	v_cvt_f32_f16_sdwa v3, v1 dst_sel:DWORD dst_unused:UNUSED_PAD src0_sel:WORD_1
	v_add_u32_e32 v14, 0x180, v14
	v_lshlrev_b64 v[10:11], 2, v[14:15]
	v_add_co_u32_e32 v10, vcc, s20, v10
	v_addc_co_u32_e32 v11, vcc, v5, v11, vcc
	v_pk_mul_f32 v[0:1], v[6:7], v[12:13] op_sel_hi:[0,1]
	v_pk_mul_f32 v[2:3], v[6:7], v[2:3] op_sel_hi:[0,1]
	global_store_dwordx4 v[10:11], v[0:3], off
	s_and_b64 exec, exec, s[0:1]
	s_cbranch_execz .LBB27_37
; %bb.36:
	v_ashrrev_i32_e32 v5, 31, v4
	v_lshlrev_b64 v[0:1], 3, v[4:5]
	v_mov_b32_e32 v2, s23
	v_add_co_u32_e32 v0, vcc, s22, v0
	v_addc_co_u32_e32 v1, vcc, v2, v1, vcc
	v_mov_b32_e32 v8, v7
	global_store_dwordx2 v[0:1], v[8:9], off
.LBB27_37:
	s_endpgm
	.section	.rodata,"a",@progbits
	.p2align	6, 0x0
	.amdhsa_kernel _ZL15flash_attn_tileILi512ELi512ELi2ELi8ELb1EEvPKcS1_S1_S1_S1_PKiPfP15HIP_vector_typeIfLj2EEffffjfiS5_IjLj3EEiiiiiiiiiiiliiliiiiil
		.amdhsa_group_segment_fixed_size 27648
		.amdhsa_private_segment_fixed_size 0
		.amdhsa_kernarg_size 464
		.amdhsa_user_sgpr_count 6
		.amdhsa_user_sgpr_private_segment_buffer 1
		.amdhsa_user_sgpr_dispatch_ptr 0
		.amdhsa_user_sgpr_queue_ptr 0
		.amdhsa_user_sgpr_kernarg_segment_ptr 1
		.amdhsa_user_sgpr_dispatch_id 0
		.amdhsa_user_sgpr_flat_scratch_init 0
		.amdhsa_user_sgpr_kernarg_preload_length 0
		.amdhsa_user_sgpr_kernarg_preload_offset 0
		.amdhsa_user_sgpr_private_segment_size 0
		.amdhsa_uses_dynamic_stack 0
		.amdhsa_system_sgpr_private_segment_wavefront_offset 0
		.amdhsa_system_sgpr_workgroup_id_x 1
		.amdhsa_system_sgpr_workgroup_id_y 1
		.amdhsa_system_sgpr_workgroup_id_z 1
		.amdhsa_system_sgpr_workgroup_info 0
		.amdhsa_system_vgpr_workitem_id 1
		.amdhsa_next_free_vgpr 110
		.amdhsa_next_free_sgpr 40
		.amdhsa_accum_offset 112
		.amdhsa_reserve_vcc 1
		.amdhsa_reserve_flat_scratch 0
		.amdhsa_float_round_mode_32 0
		.amdhsa_float_round_mode_16_64 0
		.amdhsa_float_denorm_mode_32 3
		.amdhsa_float_denorm_mode_16_64 3
		.amdhsa_dx10_clamp 1
		.amdhsa_ieee_mode 1
		.amdhsa_fp16_overflow 0
		.amdhsa_tg_split 0
		.amdhsa_exception_fp_ieee_invalid_op 0
		.amdhsa_exception_fp_denorm_src 0
		.amdhsa_exception_fp_ieee_div_zero 0
		.amdhsa_exception_fp_ieee_overflow 0
		.amdhsa_exception_fp_ieee_underflow 0
		.amdhsa_exception_fp_ieee_inexact 0
		.amdhsa_exception_int_div_zero 0
	.end_amdhsa_kernel
	.section	.text._ZL15flash_attn_tileILi512ELi512ELi2ELi8ELb1EEvPKcS1_S1_S1_S1_PKiPfP15HIP_vector_typeIfLj2EEffffjfiS5_IjLj3EEiiiiiiiiiiiliiliiiiil,"axG",@progbits,_ZL15flash_attn_tileILi512ELi512ELi2ELi8ELb1EEvPKcS1_S1_S1_S1_PKiPfP15HIP_vector_typeIfLj2EEffffjfiS5_IjLj3EEiiiiiiiiiiiliiliiiiil,comdat
.Lfunc_end27:
	.size	_ZL15flash_attn_tileILi512ELi512ELi2ELi8ELb1EEvPKcS1_S1_S1_S1_PKiPfP15HIP_vector_typeIfLj2EEffffjfiS5_IjLj3EEiiiiiiiiiiiliiliiiiil, .Lfunc_end27-_ZL15flash_attn_tileILi512ELi512ELi2ELi8ELb1EEvPKcS1_S1_S1_S1_PKiPfP15HIP_vector_typeIfLj2EEffffjfiS5_IjLj3EEiiiiiiiiiiiliiliiiiil
                                        ; -- End function
	.section	.AMDGPU.csdata,"",@progbits
; Kernel info:
; codeLenInByte = 27232
; NumSgprs: 44
; NumVgprs: 110
; NumAgprs: 0
; TotalNumVgprs: 110
; ScratchSize: 0
; MemoryBound: 0
; FloatMode: 240
; IeeeMode: 1
; LDSByteSize: 27648 bytes/workgroup (compile time only)
; SGPRBlocks: 5
; VGPRBlocks: 13
; NumSGPRsForWavesPerEU: 44
; NumVGPRsForWavesPerEU: 110
; AccumOffset: 112
; Occupancy: 2
; WaveLimiterHint : 1
; COMPUTE_PGM_RSRC2:SCRATCH_EN: 0
; COMPUTE_PGM_RSRC2:USER_SGPR: 6
; COMPUTE_PGM_RSRC2:TRAP_HANDLER: 0
; COMPUTE_PGM_RSRC2:TGID_X_EN: 1
; COMPUTE_PGM_RSRC2:TGID_Y_EN: 1
; COMPUTE_PGM_RSRC2:TGID_Z_EN: 1
; COMPUTE_PGM_RSRC2:TIDIG_COMP_CNT: 1
; COMPUTE_PGM_RSRC3_GFX90A:ACCUM_OFFSET: 27
; COMPUTE_PGM_RSRC3_GFX90A:TG_SPLIT: 0
	.section	.text._ZL15flash_attn_tileILi512ELi512ELi1ELi8ELb1EEvPKcS1_S1_S1_S1_PKiPfP15HIP_vector_typeIfLj2EEffffjfiS5_IjLj3EEiiiiiiiiiiiliiliiiiil,"axG",@progbits,_ZL15flash_attn_tileILi512ELi512ELi1ELi8ELb1EEvPKcS1_S1_S1_S1_PKiPfP15HIP_vector_typeIfLj2EEffffjfiS5_IjLj3EEiiiiiiiiiiiliiliiiiil,comdat
	.globl	_ZL15flash_attn_tileILi512ELi512ELi1ELi8ELb1EEvPKcS1_S1_S1_S1_PKiPfP15HIP_vector_typeIfLj2EEffffjfiS5_IjLj3EEiiiiiiiiiiiliiliiiiil ; -- Begin function _ZL15flash_attn_tileILi512ELi512ELi1ELi8ELb1EEvPKcS1_S1_S1_S1_PKiPfP15HIP_vector_typeIfLj2EEffffjfiS5_IjLj3EEiiiiiiiiiiiliiliiiiil
	.p2align	8
	.type	_ZL15flash_attn_tileILi512ELi512ELi1ELi8ELb1EEvPKcS1_S1_S1_S1_PKiPfP15HIP_vector_typeIfLj2EEffffjfiS5_IjLj3EEiiiiiiiiiiiliiliiiiil,@function
_ZL15flash_attn_tileILi512ELi512ELi1ELi8ELb1EEvPKcS1_S1_S1_S1_PKiPfP15HIP_vector_typeIfLj2EEffffjfiS5_IjLj3EEiiiiiiiiiiiliiliiiiil: ; @_ZL15flash_attn_tileILi512ELi512ELi1ELi8ELb1EEvPKcS1_S1_S1_S1_PKiPfP15HIP_vector_typeIfLj2EEffffjfiS5_IjLj3EEiiiiiiiiiiiliiliiiiil
; %bb.0:
	s_load_dwordx4 s[0:3], s[4:5], 0x5c
	s_load_dwordx2 s[28:29], s[4:5], 0x80
	s_load_dwordx2 s[34:35], s[4:5], 0xb8
	s_mov_b64 s[30:31], 0
	s_waitcnt lgkmcnt(0)
	s_ashr_i32 s9, s3, 31
	s_lshr_b32 s9, s9, 29
	s_add_i32 s9, s3, s9
	s_ashr_i32 s9, s9, 3
	v_cvt_f32_u32_e32 v1, s9
	s_sub_i32 s10, 0, s9
	v_rcp_iflag_f32_e32 v1, v1
	v_mul_f32_e32 v1, 0x4f7ffffe, v1
	v_cvt_u32_f32_e32 v1, v1
	v_readfirstlane_b32 s11, v1
	s_mul_i32 s10, s10, s11
	s_mul_hi_u32 s10, s11, s10
	s_add_i32 s11, s11, s10
	s_mul_hi_u32 s10, s8, s11
	s_mul_i32 s11, s10, s9
	s_sub_i32 s11, s8, s11
	s_add_i32 s12, s10, 1
	s_sub_i32 s13, s11, s9
	s_cmp_ge_u32 s11, s9
	s_cselect_b32 s10, s12, s10
	s_cselect_b32 s11, s13, s11
	s_add_i32 s12, s10, 1
	s_cmp_ge_u32 s11, s9
	s_cselect_b32 s33, s12, s10
	s_abs_i32 s9, s29
	v_cvt_f32_u32_e32 v1, s9
	s_lshl_b32 s8, s8, 3
	s_mul_i32 s12, s33, s3
	s_xor_b32 s10, s3, s29
	v_rcp_iflag_f32_e32 v1, v1
	s_sub_i32 s13, 0, s9
	s_sub_i32 s29, s8, s12
	s_abs_i32 s11, s3
	v_mul_f32_e32 v1, 0x4f7ffffe, v1
	v_cvt_u32_f32_e32 v1, v1
	s_ashr_i32 s10, s10, 31
	v_readfirstlane_b32 s8, v1
	s_mul_i32 s13, s13, s8
	s_mul_hi_u32 s12, s8, s13
	s_add_i32 s8, s8, s12
	s_mul_hi_u32 s8, s11, s8
	s_mul_i32 s12, s8, s9
	s_sub_i32 s11, s11, s12
	s_add_i32 s13, s8, 1
	s_sub_i32 s12, s11, s9
	s_cmp_ge_u32 s11, s9
	s_cselect_b32 s8, s13, s8
	s_cselect_b32 s11, s12, s11
	s_add_i32 s12, s8, 1
	s_cmp_ge_u32 s11, s9
	s_cselect_b32 s8, s12, s8
	s_xor_b32 s8, s8, s10
	s_sub_i32 s37, s8, s10
	s_abs_i32 s36, s37
	v_cvt_f32_u32_e32 v1, s36
	s_load_dwordx16 s[8:23], s[4:5], 0x0
	v_rcp_iflag_f32_e32 v1, v1
	s_waitcnt lgkmcnt(0)
	s_cmp_eq_u64 s[14:15], 0
	v_mul_f32_e32 v1, 0x4f7ffffe, v1
	v_cvt_u32_f32_e32 v1, v1
	v_readfirstlane_b32 s24, v1
	s_cbranch_scc1 .LBB28_2
; %bb.1:
	s_abs_i32 s25, s34
	v_cvt_f32_u32_e32 v1, s25
	s_sub_i32 s34, 0, s25
	s_abs_i32 s31, s33
	s_ashr_i32 s30, s33, 31
	v_rcp_iflag_f32_e32 v1, v1
	s_load_dwordx2 s[26:27], s[4:5], 0xc8
	v_mul_f32_e32 v1, 0x4f7ffffe, v1
	v_cvt_u32_f32_e32 v1, v1
	v_readfirstlane_b32 s38, v1
	s_mul_i32 s34, s34, s38
	s_mul_hi_u32 s34, s38, s34
	s_add_i32 s38, s38, s34
	s_mul_hi_u32 s34, s31, s38
	s_mul_i32 s34, s34, s25
	s_sub_i32 s31, s31, s34
	s_sub_i32 s34, s31, s25
	s_cmp_ge_u32 s31, s25
	s_cselect_b32 s31, s34, s31
	s_sub_i32 s34, s31, s25
	s_cmp_ge_u32 s31, s25
	s_cselect_b32 s25, s34, s31
	s_xor_b32 s25, s25, s30
	s_sub_i32 s25, s25, s30
	s_ashr_i32 s30, s25, 31
	s_waitcnt lgkmcnt(0)
	s_mul_i32 s27, s25, s27
	s_mul_hi_u32 s31, s25, s26
	s_add_i32 s27, s31, s27
	s_mul_i32 s30, s30, s26
	s_add_i32 s27, s27, s30
	s_mul_i32 s25, s25, s26
	s_add_u32 s30, s14, s25
	s_addc_u32 s31, s15, s27
.LBB28_2:
	s_load_dwordx4 s[40:43], s[4:5], 0x70
	v_bfe_u32 v4, v0, 10, 10
	v_and_b32_e32 v12, 7, v4
	v_lshrrev_b32_e32 v1, 3, v4
	v_add_u32_e32 v1, s6, v1
	s_waitcnt lgkmcnt(0)
	s_mul_i32 s14, s33, s42
	s_ashr_i32 s25, s14, 31
	s_mul_i32 s15, s29, s41
	s_add_u32 s8, s8, s14
	s_addc_u32 s9, s9, s25
	s_ashr_i32 s14, s15, 31
	s_add_u32 s15, s8, s15
	s_addc_u32 s14, s9, s14
	s_ashr_i32 s25, s41, 31
	v_mov_b32_e32 v2, s41
	v_alignbit_b32 v2, s25, v2, 2
	v_mad_u64_u32 v[6:7], s[8:9], v2, v12, 0
	v_mov_b32_e32 v2, v7
	s_lshr_b32 s8, s25, 2
	v_mad_u64_u32 v[2:3], s[8:9], s8, v12, v[2:3]
	v_mov_b32_e32 v7, v2
	v_mul_hi_u32 v2, s0, v1
	v_add_u32_e32 v2, v1, v2
	v_lshrrev_b32_e32 v2, s1, v2
	v_mul_lo_u32 v2, v2, s2
	s_ashr_i32 s8, s40, 31
	v_mov_b32_e32 v3, s40
	v_sub_u32_e32 v2, v1, v2
	v_alignbit_b32 v3, s8, v3, 2
	v_mad_u64_u32 v[8:9], s[0:1], v3, v2, 0
	v_mov_b32_e32 v10, v9
	s_lshr_b32 s0, s8, 2
	v_mad_u64_u32 v[10:11], s[0:1], s0, v2, v[10:11]
	v_lshlrev_b64 v[6:7], 2, v[6:7]
	v_mov_b32_e32 v9, v10
	v_mov_b32_e32 v3, s14
	v_add_co_u32_e32 v5, vcc, s15, v6
	v_addc_co_u32_e32 v3, vcc, v3, v7, vcc
	v_lshlrev_b64 v[6:7], 2, v[8:9]
	v_and_b32_e32 v0, 0x3ff, v0
	v_add_co_u32_e32 v5, vcc, v5, v6
	v_addc_co_u32_e32 v3, vcc, v3, v7, vcc
	v_lshlrev_b32_e32 v6, 4, v0
	v_add_co_u32_e32 v10, vcc, v5, v6
	v_addc_co_u32_e32 v11, vcc, 0, v3, vcc
	global_load_dwordx4 v[6:9], v[10:11], off
	global_load_dwordx4 v[14:17], v[10:11], off offset:512
	global_load_dwordx4 v[18:21], v[10:11], off offset:1024
	;; [unrolled: 1-line block ×3, first 2 shown]
	s_load_dword s0, s[4:5], 0x40
	s_mov_b32 s1, 0
	v_lshlrev_b32_e32 v3, 8, v4
	v_lshlrev_b32_e32 v5, 1, v0
	v_add_lshl_u32 v3, v5, v3, 2
	v_add_u32_e32 v3, 0x2000, v3
	s_cmp_eq_u64 s[18:19], 0
	s_waitcnt vmcnt(3) lgkmcnt(0)
	v_pk_mul_f32 v[6:7], v[6:7], s[0:1] op_sel_hi:[1,0]
	v_pk_mul_f32 v[8:9], v[8:9], s[0:1] op_sel_hi:[1,0]
	s_waitcnt vmcnt(2)
	v_pk_mul_f32 v[10:11], v[14:15], s[0:1] op_sel_hi:[1,0]
	v_pk_mul_f32 v[14:15], v[16:17], s[0:1] op_sel_hi:[1,0]
	s_waitcnt vmcnt(1)
	;; [unrolled: 3-line block ×3, first 2 shown]
	v_pk_mul_f32 v[20:21], v[22:23], s[0:1] op_sel_hi:[1,0]
	v_pk_mul_f32 v[22:23], v[24:25], s[0:1] op_sel_hi:[1,0]
	v_cvt_f16_f32_e32 v5, v7
	v_cvt_f16_f32_e32 v6, v6
	;; [unrolled: 1-line block ×16, first 2 shown]
	v_pack_b32_f16 v7, v8, v7
	v_pack_b32_f16 v6, v6, v5
	;; [unrolled: 1-line block ×8, first 2 shown]
	ds_write2_b64 v3, v[6:7], v[8:9] offset0:128 offset1:160
	ds_write2_b64 v3, v[10:11], v[14:15] offset0:192 offset1:224
	s_waitcnt lgkmcnt(0)
	s_barrier
	s_cbranch_scc1 .LBB28_4
; %bb.3:
	s_load_dword s0, s[4:5], 0xd0
	s_waitcnt lgkmcnt(0)
	s_mul_i32 s0, s0, s33
	s_add_i32 s0, s0, s6
	s_lshl_b64 s[0:1], s[0:1], 2
	s_add_u32 s0, s18, s0
	s_addc_u32 s1, s19, s1
	s_load_dword s28, s[0:1], 0x0
.LBB28_4:
	s_lshl_b32 s6, s7, 6
	v_lshlrev_b32_e32 v13, 2, v0
	s_waitcnt lgkmcnt(0)
	s_cmp_lt_i32 s6, s28
	v_mbcnt_lo_u32_b32 v29, -1, 0
	s_cbranch_scc1 .LBB28_6
; %bb.5:
	v_mbcnt_hi_u32_b32 v3, -1, v29
	v_and_b32_e32 v5, 0x60, v3
	s_mov_b32 s8, 0
	v_add_u32_e32 v9, 32, v5
	v_xor_b32_e32 v10, 16, v3
	v_xor_b32_e32 v11, 8, v3
	;; [unrolled: 1-line block ×5, first 2 shown]
	s_mov_b64 s[0:1], 0
	s_mov_b32 s9, 0xfeffffff
	s_branch .LBB28_7
.LBB28_6:
	s_mov_b64 s[0:1], -1
                                        ; implicit-def: $sgpr9
                                        ; implicit-def: $sgpr8
                                        ; implicit-def: $vgpr3
                                        ; implicit-def: $vgpr9
                                        ; implicit-def: $vgpr10
                                        ; implicit-def: $vgpr11
                                        ; implicit-def: $vgpr40
                                        ; implicit-def: $vgpr41
                                        ; implicit-def: $vgpr42
.LBB28_7:
	s_andn2_b64 vcc, exec, s[0:1]
	v_mov_b32_e32 v8, s9
	v_mov_b32_e32 v43, s8
	;; [unrolled: 1-line block ×10, first 2 shown]
	s_cbranch_vccnz .LBB28_19
; %bb.8:
	s_sub_i32 s0, 0, s36
	s_mul_i32 s0, s0, s24
	s_mul_hi_u32 s0, s24, s0
	s_abs_i32 s19, s29
	s_add_i32 s24, s24, s0
	s_mul_hi_u32 s34, s19, s24
	s_load_dwordx4 s[24:27], s[4:5], 0x98
	s_load_dword s14, s[4:5], 0x54
	s_load_dwordx2 s[0:1], s[4:5], 0x8c
	s_ashr_i32 s38, s29, 31
	s_ashr_i32 s37, s37, 31
	s_waitcnt lgkmcnt(0)
	s_ashr_i32 s15, s26, 2
	s_ashr_i32 s26, s35, 1
	;; [unrolled: 1-line block ×4, first 2 shown]
	s_mul_i32 s25, s33, s25
	s_mul_hi_u32 s35, s33, s24
	s_add_i32 s25, s35, s25
	s_mul_i32 s35, s0, s24
	s_add_i32 s25, s25, s35
	s_mul_i32 s24, s33, s24
	s_add_u32 s10, s10, s24
	s_addc_u32 s11, s11, s25
	s_mul_i32 s25, s34, s36
	s_sub_i32 s19, s19, s25
	s_xor_b32 s24, s38, s37
	s_add_i32 s25, s34, 1
	s_sub_i32 s35, s19, s36
	s_cmp_ge_u32 s19, s36
	s_cselect_b32 s25, s25, s34
	s_cselect_b32 s19, s35, s19
	s_add_i32 s34, s25, 1
	s_cmp_ge_u32 s19, s36
	s_load_dwordx2 s[8:9], s[4:5], 0xa8
	s_cselect_b32 s19, s34, s25
	s_xor_b32 s19, s19, s24
	s_sub_i32 s19, s19, s24
	s_mul_i32 s1, s19, s1
	s_ashr_i32 s24, s1, 31
	s_add_u32 s10, s10, s1
	s_waitcnt lgkmcnt(0)
	s_mul_i32 s1, s33, s9
	s_mul_hi_u32 s9, s33, s8
	s_addc_u32 s11, s11, s24
	s_add_i32 s1, s9, s1
	s_mul_i32 s0, s0, s8
	s_add_i32 s1, s1, s0
	s_mul_i32 s0, s33, s8
	s_add_u32 s0, s12, s0
	s_mul_i32 s19, s19, s27
	s_addc_u32 s1, s13, s1
	s_ashr_i32 s8, s19, 31
	v_lshrrev_b32_e32 v3, 3, v0
	v_and_b32_e32 v6, 28, v13
	s_add_u32 s9, s0, s19
	v_lshl_add_u32 v3, v4, 2, v3
	v_lshlrev_b32_e32 v5, 2, v6
	s_movk_i32 s0, 0x90
	s_addc_u32 s8, s1, s8
	v_mad_u32_u24 v14, v3, s0, v5
	v_mul_lo_u32 v8, s18, v3
	v_mad_u64_u32 v[2:3], s[0:1], v2, s26, v[0:1]
	v_mov_b32_e32 v3, 0x4400
	v_lshlrev_b32_e32 v5, 10, v4
	v_lshl_add_u32 v18, v4, 7, v3
	v_lshlrev_b32_e32 v3, 2, v13
	v_mul_lo_u32 v4, s15, v4
	v_add_u32_e32 v16, 0x2400, v5
	v_add_u32_e32 v20, v5, v3
	v_ashrrev_i32_e32 v5, 31, v4
	v_lshlrev_b64 v[4:5], 2, v[4:5]
	v_mov_b32_e32 v7, s8
	v_add_co_u32_e32 v4, vcc, s9, v4
	v_lshl_add_u32 v10, s18, 5, v8
	v_addc_co_u32_e32 v5, vcc, v7, v5, vcc
	v_ashrrev_i32_e32 v9, 31, v8
	v_ashrrev_i32_e32 v11, 31, v10
	s_add_u32 s0, s4, 0xd0
	v_add_co_u32_e32 v23, vcc, v4, v3
	v_mov_b32_e32 v30, 0
	v_add_u32_e32 v15, 0x1200, v14
	v_mul_u32_u24_e32 v17, 0x90, v0
	v_lshl_add_u32 v19, v0, 1, v18
	v_add_u32_e32 v21, 0x200, v20
	v_lshlrev_b32_e32 v22, 3, v0
	s_addc_u32 s1, s5, 0
	v_addc_co_u32_e32 v24, vcc, 0, v5, vcc
	v_mov_b32_e32 v39, 0xfeffffff
	v_lshlrev_b64 v[4:5], 2, v[8:9]
	v_lshlrev_b32_e32 v25, 2, v6
	v_lshlrev_b64 v[6:7], 2, v[10:11]
	s_mov_b32 s12, 0x3f200000
	s_mov_b32 s13, 0x3fb8aa3b
	;; [unrolled: 1-line block ×4, first 2 shown]
	v_mov_b32_e32 v26, 0xbd5c1c4e
	v_mov_b32_e32 v27, 0x3e088382
	;; [unrolled: 1-line block ×3, first 2 shown]
	s_brev_b32 s25, -2
	v_mbcnt_hi_u32_b32 v3, -1, v29
	v_mov_b32_e32 v29, 0x7f800000
	v_mov_b32_e32 v33, 0
	;; [unrolled: 1-line block ×9, first 2 shown]
.LBB28_9:                               ; =>This Inner Loop Header: Depth=1
	s_mul_hi_i32 s9, s6, s18
	s_mul_i32 s8, s6, s18
	s_lshl_b64 s[8:9], s[8:9], 2
	s_add_u32 s8, s10, s8
	s_addc_u32 s9, s11, s9
	v_mov_b32_e32 v8, s9
	v_add_co_u32_e32 v9, vcc, s8, v4
	v_addc_co_u32_e32 v10, vcc, v8, v5, vcc
	v_add_co_u32_e32 v8, vcc, v9, v25
	v_addc_co_u32_e32 v9, vcc, 0, v10, vcc
	v_mov_b32_e32 v10, s9
	v_add_co_u32_e32 v11, vcc, s8, v6
	v_addc_co_u32_e32 v40, vcc, v10, v7, vcc
	v_add_co_u32_e32 v10, vcc, v11, v25
	v_addc_co_u32_e32 v11, vcc, 0, v40, vcc
	global_load_dwordx4 v[40:43], v[8:9], off
	global_load_dwordx4 v[44:47], v[10:11], off
	s_waitcnt vmcnt(1)
	ds_write_b128 v14, v[40:43]
	s_waitcnt vmcnt(0)
	ds_write_b128 v15, v[44:47]
	s_waitcnt lgkmcnt(0)
	s_barrier
	ds_read_b128 v[42:45], v17
	ds_read_b128 v[46:49], v16
	v_mov_b32_e32 v40, 0
	ds_read_b128 v[50:53], v17 offset:4608
	s_waitcnt lgkmcnt(1)
	;;#ASMSTART
	v_dot2_f32_f16 v40, v42, v46, v40
	;;#ASMEND
	;;#ASMSTART
	v_dot2_f32_f16 v40, v43, v47, v40
	;;#ASMEND
	v_mov_b32_e32 v41, 0
	;;#ASMSTART
	v_dot2_f32_f16 v40, v44, v48, v40
	;;#ASMEND
	;;#ASMSTART
	v_dot2_f32_f16 v40, v45, v49, v40
	;;#ASMEND
	s_waitcnt lgkmcnt(0)
	;;#ASMSTART
	v_dot2_f32_f16 v41, v50, v46, v41
	;;#ASMEND
	;;#ASMSTART
	v_dot2_f32_f16 v41, v51, v47, v41
	;;#ASMEND
	;;#ASMSTART
	v_dot2_f32_f16 v41, v52, v48, v41
	;;#ASMEND
	;;#ASMSTART
	v_dot2_f32_f16 v41, v53, v49, v41
	;;#ASMEND
	ds_read_b128 v[42:45], v17 offset:16
	ds_read_b128 v[46:49], v16 offset:16
	ds_read_b128 v[50:53], v17 offset:4624
	s_waitcnt lgkmcnt(1)
	;;#ASMSTART
	v_dot2_f32_f16 v40, v42, v46, v40
	;;#ASMEND
	;;#ASMSTART
	v_dot2_f32_f16 v40, v43, v47, v40
	;;#ASMEND
	;;#ASMSTART
	v_dot2_f32_f16 v40, v44, v48, v40
	;;#ASMEND
	;;#ASMSTART
	v_dot2_f32_f16 v40, v45, v49, v40
	;;#ASMEND
	s_waitcnt lgkmcnt(0)
	;;#ASMSTART
	v_dot2_f32_f16 v41, v50, v46, v41
	;;#ASMEND
	;;#ASMSTART
	v_dot2_f32_f16 v41, v51, v47, v41
	;;#ASMEND
	;;#ASMSTART
	v_dot2_f32_f16 v41, v52, v48, v41
	;;#ASMEND
	;;#ASMSTART
	v_dot2_f32_f16 v41, v53, v49, v41
	;;#ASMEND
	ds_read_b128 v[42:45], v17 offset:32
	ds_read_b128 v[46:49], v16 offset:32
	ds_read_b128 v[50:53], v17 offset:4640
	s_waitcnt lgkmcnt(1)
	;;#ASMSTART
	v_dot2_f32_f16 v40, v42, v46, v40
	;;#ASMEND
	;;#ASMSTART
	v_dot2_f32_f16 v40, v43, v47, v40
	;;#ASMEND
	;;#ASMSTART
	v_dot2_f32_f16 v40, v44, v48, v40
	;;#ASMEND
	;;#ASMSTART
	v_dot2_f32_f16 v40, v45, v49, v40
	;;#ASMEND
	s_waitcnt lgkmcnt(0)
	;;#ASMSTART
	v_dot2_f32_f16 v41, v50, v46, v41
	;;#ASMEND
	;;#ASMSTART
	v_dot2_f32_f16 v41, v51, v47, v41
	;;#ASMEND
	;;#ASMSTART
	v_dot2_f32_f16 v41, v52, v48, v41
	;;#ASMEND
	;;#ASMSTART
	v_dot2_f32_f16 v41, v53, v49, v41
	;;#ASMEND
	ds_read_b128 v[42:45], v17 offset:48
	ds_read_b128 v[46:49], v16 offset:48
	ds_read_b128 v[50:53], v17 offset:4656
	s_waitcnt lgkmcnt(1)
	;;#ASMSTART
	v_dot2_f32_f16 v40, v42, v46, v40
	;;#ASMEND
	;;#ASMSTART
	v_dot2_f32_f16 v40, v43, v47, v40
	;;#ASMEND
	;;#ASMSTART
	v_dot2_f32_f16 v40, v44, v48, v40
	;;#ASMEND
	;;#ASMSTART
	v_dot2_f32_f16 v40, v45, v49, v40
	;;#ASMEND
	s_waitcnt lgkmcnt(0)
	;;#ASMSTART
	v_dot2_f32_f16 v41, v50, v46, v41
	;;#ASMEND
	;;#ASMSTART
	v_dot2_f32_f16 v41, v51, v47, v41
	;;#ASMEND
	;;#ASMSTART
	v_dot2_f32_f16 v41, v52, v48, v41
	;;#ASMEND
	;;#ASMSTART
	v_dot2_f32_f16 v41, v53, v49, v41
	;;#ASMEND
	ds_read_b128 v[42:45], v17 offset:64
	ds_read_b128 v[46:49], v16 offset:64
	ds_read_b128 v[50:53], v17 offset:4672
	s_waitcnt lgkmcnt(1)
	;;#ASMSTART
	v_dot2_f32_f16 v40, v42, v46, v40
	;;#ASMEND
	;;#ASMSTART
	v_dot2_f32_f16 v40, v43, v47, v40
	;;#ASMEND
	;;#ASMSTART
	v_dot2_f32_f16 v40, v44, v48, v40
	;;#ASMEND
	;;#ASMSTART
	v_dot2_f32_f16 v40, v45, v49, v40
	;;#ASMEND
	s_waitcnt lgkmcnt(0)
	;;#ASMSTART
	v_dot2_f32_f16 v41, v50, v46, v41
	;;#ASMEND
	;;#ASMSTART
	v_dot2_f32_f16 v41, v51, v47, v41
	;;#ASMEND
	;;#ASMSTART
	v_dot2_f32_f16 v41, v52, v48, v41
	;;#ASMEND
	;;#ASMSTART
	v_dot2_f32_f16 v41, v53, v49, v41
	;;#ASMEND
	ds_read_b128 v[42:45], v17 offset:80
	ds_read_b128 v[46:49], v16 offset:80
	ds_read_b128 v[50:53], v17 offset:4688
	s_waitcnt lgkmcnt(1)
	;;#ASMSTART
	v_dot2_f32_f16 v40, v42, v46, v40
	;;#ASMEND
	;;#ASMSTART
	v_dot2_f32_f16 v40, v43, v47, v40
	;;#ASMEND
	;;#ASMSTART
	v_dot2_f32_f16 v40, v44, v48, v40
	;;#ASMEND
	;;#ASMSTART
	v_dot2_f32_f16 v40, v45, v49, v40
	;;#ASMEND
	s_waitcnt lgkmcnt(0)
	;;#ASMSTART
	v_dot2_f32_f16 v41, v50, v46, v41
	;;#ASMEND
	;;#ASMSTART
	v_dot2_f32_f16 v41, v51, v47, v41
	;;#ASMEND
	;;#ASMSTART
	v_dot2_f32_f16 v41, v52, v48, v41
	;;#ASMEND
	;;#ASMSTART
	v_dot2_f32_f16 v41, v53, v49, v41
	;;#ASMEND
	ds_read_b128 v[42:45], v17 offset:96
	ds_read_b128 v[46:49], v16 offset:96
	ds_read_b128 v[50:53], v17 offset:4704
	s_waitcnt lgkmcnt(1)
	;;#ASMSTART
	v_dot2_f32_f16 v40, v42, v46, v40
	;;#ASMEND
	;;#ASMSTART
	v_dot2_f32_f16 v40, v43, v47, v40
	;;#ASMEND
	;;#ASMSTART
	v_dot2_f32_f16 v40, v44, v48, v40
	;;#ASMEND
	;;#ASMSTART
	v_dot2_f32_f16 v40, v45, v49, v40
	;;#ASMEND
	s_waitcnt lgkmcnt(0)
	;;#ASMSTART
	v_dot2_f32_f16 v41, v50, v46, v41
	;;#ASMEND
	;;#ASMSTART
	v_dot2_f32_f16 v41, v51, v47, v41
	;;#ASMEND
	;;#ASMSTART
	v_dot2_f32_f16 v41, v52, v48, v41
	;;#ASMEND
	;;#ASMSTART
	v_dot2_f32_f16 v41, v53, v49, v41
	;;#ASMEND
	ds_read_b128 v[42:45], v17 offset:112
	ds_read_b128 v[46:49], v16 offset:112
	ds_read_b128 v[50:53], v17 offset:4720
	s_waitcnt lgkmcnt(1)
	;;#ASMSTART
	v_dot2_f32_f16 v40, v42, v46, v40
	;;#ASMEND
	;;#ASMSTART
	v_dot2_f32_f16 v40, v43, v47, v40
	;;#ASMEND
	;;#ASMSTART
	v_dot2_f32_f16 v40, v44, v48, v40
	;;#ASMEND
	;;#ASMSTART
	v_dot2_f32_f16 v40, v45, v49, v40
	;;#ASMEND
	s_waitcnt lgkmcnt(0)
	;;#ASMSTART
	v_dot2_f32_f16 v41, v50, v46, v41
	;;#ASMEND
	;;#ASMSTART
	v_dot2_f32_f16 v41, v51, v47, v41
	;;#ASMEND
	;; [unrolled: 3-line block ×4, first 2 shown]
	s_barrier
	global_load_dwordx4 v[42:45], v[8:9], off offset:128
	global_load_dwordx4 v[46:49], v[10:11], off offset:128
	s_waitcnt vmcnt(1)
	ds_write_b128 v14, v[42:45]
	s_waitcnt vmcnt(0)
	ds_write_b128 v15, v[46:49]
	s_waitcnt lgkmcnt(0)
	s_barrier
	ds_read_b128 v[42:45], v17
	ds_read_b128 v[46:49], v16 offset:128
	ds_read_b128 v[50:53], v17 offset:4608
	s_waitcnt lgkmcnt(1)
	;;#ASMSTART
	v_dot2_f32_f16 v40, v42, v46, v40
	;;#ASMEND
	;;#ASMSTART
	v_dot2_f32_f16 v40, v43, v47, v40
	;;#ASMEND
	;;#ASMSTART
	v_dot2_f32_f16 v40, v44, v48, v40
	;;#ASMEND
	;;#ASMSTART
	v_dot2_f32_f16 v40, v45, v49, v40
	;;#ASMEND
	s_waitcnt lgkmcnt(0)
	;;#ASMSTART
	v_dot2_f32_f16 v41, v50, v46, v41
	;;#ASMEND
	;;#ASMSTART
	v_dot2_f32_f16 v41, v51, v47, v41
	;;#ASMEND
	;;#ASMSTART
	v_dot2_f32_f16 v41, v52, v48, v41
	;;#ASMEND
	;;#ASMSTART
	v_dot2_f32_f16 v41, v53, v49, v41
	;;#ASMEND
	ds_read_b128 v[42:45], v17 offset:16
	ds_read_b128 v[46:49], v16 offset:144
	ds_read_b128 v[50:53], v17 offset:4624
	s_waitcnt lgkmcnt(1)
	;;#ASMSTART
	v_dot2_f32_f16 v40, v42, v46, v40
	;;#ASMEND
	;;#ASMSTART
	v_dot2_f32_f16 v40, v43, v47, v40
	;;#ASMEND
	;;#ASMSTART
	v_dot2_f32_f16 v40, v44, v48, v40
	;;#ASMEND
	;;#ASMSTART
	v_dot2_f32_f16 v40, v45, v49, v40
	;;#ASMEND
	s_waitcnt lgkmcnt(0)
	;;#ASMSTART
	v_dot2_f32_f16 v41, v50, v46, v41
	;;#ASMEND
	;;#ASMSTART
	v_dot2_f32_f16 v41, v51, v47, v41
	;;#ASMEND
	;;#ASMSTART
	v_dot2_f32_f16 v41, v52, v48, v41
	;;#ASMEND
	;;#ASMSTART
	v_dot2_f32_f16 v41, v53, v49, v41
	;;#ASMEND
	ds_read_b128 v[42:45], v17 offset:32
	;; [unrolled: 29-line block ×7, first 2 shown]
	ds_read_b128 v[46:49], v16 offset:240
	ds_read_b128 v[50:53], v17 offset:4720
	s_waitcnt lgkmcnt(1)
	;;#ASMSTART
	v_dot2_f32_f16 v40, v42, v46, v40
	;;#ASMEND
	;;#ASMSTART
	v_dot2_f32_f16 v40, v43, v47, v40
	;;#ASMEND
	;; [unrolled: 3-line block ×4, first 2 shown]
	s_waitcnt lgkmcnt(0)
	;;#ASMSTART
	v_dot2_f32_f16 v41, v50, v46, v41
	;;#ASMEND
	;;#ASMSTART
	v_dot2_f32_f16 v41, v51, v47, v41
	;;#ASMEND
	;; [unrolled: 3-line block ×4, first 2 shown]
	s_barrier
	global_load_dwordx4 v[42:45], v[8:9], off offset:256
	global_load_dwordx4 v[46:49], v[10:11], off offset:256
	s_waitcnt vmcnt(1)
	ds_write_b128 v14, v[42:45]
	s_waitcnt vmcnt(0)
	ds_write_b128 v15, v[46:49]
	s_waitcnt lgkmcnt(0)
	s_barrier
	ds_read_b128 v[42:45], v17
	ds_read_b128 v[46:49], v16 offset:256
	ds_read_b128 v[50:53], v17 offset:4608
	s_waitcnt lgkmcnt(1)
	;;#ASMSTART
	v_dot2_f32_f16 v40, v42, v46, v40
	;;#ASMEND
	;;#ASMSTART
	v_dot2_f32_f16 v40, v43, v47, v40
	;;#ASMEND
	;;#ASMSTART
	v_dot2_f32_f16 v40, v44, v48, v40
	;;#ASMEND
	;;#ASMSTART
	v_dot2_f32_f16 v40, v45, v49, v40
	;;#ASMEND
	s_waitcnt lgkmcnt(0)
	;;#ASMSTART
	v_dot2_f32_f16 v41, v50, v46, v41
	;;#ASMEND
	;;#ASMSTART
	v_dot2_f32_f16 v41, v51, v47, v41
	;;#ASMEND
	;;#ASMSTART
	v_dot2_f32_f16 v41, v52, v48, v41
	;;#ASMEND
	;;#ASMSTART
	v_dot2_f32_f16 v41, v53, v49, v41
	;;#ASMEND
	ds_read_b128 v[42:45], v17 offset:16
	ds_read_b128 v[46:49], v16 offset:272
	ds_read_b128 v[50:53], v17 offset:4624
	s_waitcnt lgkmcnt(1)
	;;#ASMSTART
	v_dot2_f32_f16 v40, v42, v46, v40
	;;#ASMEND
	;;#ASMSTART
	v_dot2_f32_f16 v40, v43, v47, v40
	;;#ASMEND
	;;#ASMSTART
	v_dot2_f32_f16 v40, v44, v48, v40
	;;#ASMEND
	;;#ASMSTART
	v_dot2_f32_f16 v40, v45, v49, v40
	;;#ASMEND
	s_waitcnt lgkmcnt(0)
	;;#ASMSTART
	v_dot2_f32_f16 v41, v50, v46, v41
	;;#ASMEND
	;;#ASMSTART
	v_dot2_f32_f16 v41, v51, v47, v41
	;;#ASMEND
	;;#ASMSTART
	v_dot2_f32_f16 v41, v52, v48, v41
	;;#ASMEND
	;;#ASMSTART
	v_dot2_f32_f16 v41, v53, v49, v41
	;;#ASMEND
	ds_read_b128 v[42:45], v17 offset:32
	ds_read_b128 v[46:49], v16 offset:288
	ds_read_b128 v[50:53], v17 offset:4640
	s_waitcnt lgkmcnt(1)
	;;#ASMSTART
	v_dot2_f32_f16 v40, v42, v46, v40
	;;#ASMEND
	;;#ASMSTART
	v_dot2_f32_f16 v40, v43, v47, v40
	;;#ASMEND
	;;#ASMSTART
	v_dot2_f32_f16 v40, v44, v48, v40
	;;#ASMEND
	;;#ASMSTART
	v_dot2_f32_f16 v40, v45, v49, v40
	;;#ASMEND
	s_waitcnt lgkmcnt(0)
	;;#ASMSTART
	v_dot2_f32_f16 v41, v50, v46, v41
	;;#ASMEND
	;;#ASMSTART
	v_dot2_f32_f16 v41, v51, v47, v41
	;;#ASMEND
	;;#ASMSTART
	v_dot2_f32_f16 v41, v52, v48, v41
	;;#ASMEND
	;;#ASMSTART
	v_dot2_f32_f16 v41, v53, v49, v41
	;;#ASMEND
	ds_read_b128 v[42:45], v17 offset:48
	ds_read_b128 v[46:49], v16 offset:304
	ds_read_b128 v[50:53], v17 offset:4656
	s_waitcnt lgkmcnt(1)
	;;#ASMSTART
	v_dot2_f32_f16 v40, v42, v46, v40
	;;#ASMEND
	;;#ASMSTART
	v_dot2_f32_f16 v40, v43, v47, v40
	;;#ASMEND
	;;#ASMSTART
	v_dot2_f32_f16 v40, v44, v48, v40
	;;#ASMEND
	;;#ASMSTART
	v_dot2_f32_f16 v40, v45, v49, v40
	;;#ASMEND
	s_waitcnt lgkmcnt(0)
	;;#ASMSTART
	v_dot2_f32_f16 v41, v50, v46, v41
	;;#ASMEND
	;;#ASMSTART
	v_dot2_f32_f16 v41, v51, v47, v41
	;;#ASMEND
	;;#ASMSTART
	v_dot2_f32_f16 v41, v52, v48, v41
	;;#ASMEND
	;;#ASMSTART
	v_dot2_f32_f16 v41, v53, v49, v41
	;;#ASMEND
	ds_read_b128 v[42:45], v17 offset:64
	ds_read_b128 v[46:49], v16 offset:320
	ds_read_b128 v[50:53], v17 offset:4672
	s_waitcnt lgkmcnt(1)
	;;#ASMSTART
	v_dot2_f32_f16 v40, v42, v46, v40
	;;#ASMEND
	;;#ASMSTART
	v_dot2_f32_f16 v40, v43, v47, v40
	;;#ASMEND
	;;#ASMSTART
	v_dot2_f32_f16 v40, v44, v48, v40
	;;#ASMEND
	;;#ASMSTART
	v_dot2_f32_f16 v40, v45, v49, v40
	;;#ASMEND
	s_waitcnt lgkmcnt(0)
	;;#ASMSTART
	v_dot2_f32_f16 v41, v50, v46, v41
	;;#ASMEND
	;;#ASMSTART
	v_dot2_f32_f16 v41, v51, v47, v41
	;;#ASMEND
	;;#ASMSTART
	v_dot2_f32_f16 v41, v52, v48, v41
	;;#ASMEND
	;;#ASMSTART
	v_dot2_f32_f16 v41, v53, v49, v41
	;;#ASMEND
	ds_read_b128 v[42:45], v17 offset:80
	ds_read_b128 v[46:49], v16 offset:336
	ds_read_b128 v[50:53], v17 offset:4688
	s_waitcnt lgkmcnt(1)
	;;#ASMSTART
	v_dot2_f32_f16 v40, v42, v46, v40
	;;#ASMEND
	;;#ASMSTART
	v_dot2_f32_f16 v40, v43, v47, v40
	;;#ASMEND
	;;#ASMSTART
	v_dot2_f32_f16 v40, v44, v48, v40
	;;#ASMEND
	;;#ASMSTART
	v_dot2_f32_f16 v40, v45, v49, v40
	;;#ASMEND
	s_waitcnt lgkmcnt(0)
	;;#ASMSTART
	v_dot2_f32_f16 v41, v50, v46, v41
	;;#ASMEND
	;;#ASMSTART
	v_dot2_f32_f16 v41, v51, v47, v41
	;;#ASMEND
	;;#ASMSTART
	v_dot2_f32_f16 v41, v52, v48, v41
	;;#ASMEND
	;;#ASMSTART
	v_dot2_f32_f16 v41, v53, v49, v41
	;;#ASMEND
	ds_read_b128 v[42:45], v17 offset:96
	ds_read_b128 v[46:49], v16 offset:352
	ds_read_b128 v[50:53], v17 offset:4704
	s_waitcnt lgkmcnt(1)
	;;#ASMSTART
	v_dot2_f32_f16 v40, v42, v46, v40
	;;#ASMEND
	;;#ASMSTART
	v_dot2_f32_f16 v40, v43, v47, v40
	;;#ASMEND
	;;#ASMSTART
	v_dot2_f32_f16 v40, v44, v48, v40
	;;#ASMEND
	;;#ASMSTART
	v_dot2_f32_f16 v40, v45, v49, v40
	;;#ASMEND
	s_waitcnt lgkmcnt(0)
	;;#ASMSTART
	v_dot2_f32_f16 v41, v50, v46, v41
	;;#ASMEND
	;;#ASMSTART
	v_dot2_f32_f16 v41, v51, v47, v41
	;;#ASMEND
	;;#ASMSTART
	v_dot2_f32_f16 v41, v52, v48, v41
	;;#ASMEND
	;;#ASMSTART
	v_dot2_f32_f16 v41, v53, v49, v41
	;;#ASMEND
	ds_read_b128 v[42:45], v17 offset:112
	ds_read_b128 v[46:49], v16 offset:368
	ds_read_b128 v[50:53], v17 offset:4720
	s_waitcnt lgkmcnt(1)
	;;#ASMSTART
	v_dot2_f32_f16 v40, v42, v46, v40
	;;#ASMEND
	;;#ASMSTART
	v_dot2_f32_f16 v40, v43, v47, v40
	;;#ASMEND
	;; [unrolled: 3-line block ×4, first 2 shown]
	s_waitcnt lgkmcnt(0)
	;;#ASMSTART
	v_dot2_f32_f16 v41, v50, v46, v41
	;;#ASMEND
	;;#ASMSTART
	v_dot2_f32_f16 v41, v51, v47, v41
	;;#ASMEND
	;; [unrolled: 3-line block ×4, first 2 shown]
	s_barrier
	global_load_dwordx4 v[42:45], v[8:9], off offset:384
	global_load_dwordx4 v[46:49], v[10:11], off offset:384
	s_waitcnt vmcnt(1)
	ds_write_b128 v14, v[42:45]
	s_waitcnt vmcnt(0)
	ds_write_b128 v15, v[46:49]
	s_waitcnt lgkmcnt(0)
	s_barrier
	ds_read_b128 v[42:45], v17
	ds_read_b128 v[46:49], v16 offset:384
	ds_read_b128 v[50:53], v17 offset:4608
	s_waitcnt lgkmcnt(1)
	;;#ASMSTART
	v_dot2_f32_f16 v40, v42, v46, v40
	;;#ASMEND
	;;#ASMSTART
	v_dot2_f32_f16 v40, v43, v47, v40
	;;#ASMEND
	;;#ASMSTART
	v_dot2_f32_f16 v40, v44, v48, v40
	;;#ASMEND
	;;#ASMSTART
	v_dot2_f32_f16 v40, v45, v49, v40
	;;#ASMEND
	s_waitcnt lgkmcnt(0)
	;;#ASMSTART
	v_dot2_f32_f16 v41, v50, v46, v41
	;;#ASMEND
	;;#ASMSTART
	v_dot2_f32_f16 v41, v51, v47, v41
	;;#ASMEND
	;;#ASMSTART
	v_dot2_f32_f16 v41, v52, v48, v41
	;;#ASMEND
	;;#ASMSTART
	v_dot2_f32_f16 v41, v53, v49, v41
	;;#ASMEND
	ds_read_b128 v[42:45], v17 offset:16
	ds_read_b128 v[46:49], v16 offset:400
	ds_read_b128 v[50:53], v17 offset:4624
	s_waitcnt lgkmcnt(1)
	;;#ASMSTART
	v_dot2_f32_f16 v40, v42, v46, v40
	;;#ASMEND
	;;#ASMSTART
	v_dot2_f32_f16 v40, v43, v47, v40
	;;#ASMEND
	;;#ASMSTART
	v_dot2_f32_f16 v40, v44, v48, v40
	;;#ASMEND
	;;#ASMSTART
	v_dot2_f32_f16 v40, v45, v49, v40
	;;#ASMEND
	s_waitcnt lgkmcnt(0)
	;;#ASMSTART
	v_dot2_f32_f16 v41, v50, v46, v41
	;;#ASMEND
	;;#ASMSTART
	v_dot2_f32_f16 v41, v51, v47, v41
	;;#ASMEND
	;;#ASMSTART
	v_dot2_f32_f16 v41, v52, v48, v41
	;;#ASMEND
	;;#ASMSTART
	v_dot2_f32_f16 v41, v53, v49, v41
	;;#ASMEND
	ds_read_b128 v[42:45], v17 offset:32
	;; [unrolled: 29-line block ×7, first 2 shown]
	ds_read_b128 v[46:49], v16 offset:496
	ds_read_b128 v[50:53], v17 offset:4720
	s_waitcnt lgkmcnt(1)
	;;#ASMSTART
	v_dot2_f32_f16 v40, v42, v46, v40
	;;#ASMEND
	;;#ASMSTART
	v_dot2_f32_f16 v40, v43, v47, v40
	;;#ASMEND
	;; [unrolled: 3-line block ×4, first 2 shown]
	s_waitcnt lgkmcnt(0)
	;;#ASMSTART
	v_dot2_f32_f16 v41, v50, v46, v41
	;;#ASMEND
	;;#ASMSTART
	v_dot2_f32_f16 v41, v51, v47, v41
	;;#ASMEND
	;; [unrolled: 3-line block ×4, first 2 shown]
	s_barrier
	global_load_dwordx4 v[42:45], v[8:9], off offset:512
	global_load_dwordx4 v[46:49], v[10:11], off offset:512
	s_waitcnt vmcnt(1)
	ds_write_b128 v14, v[42:45]
	s_waitcnt vmcnt(0)
	ds_write_b128 v15, v[46:49]
	s_waitcnt lgkmcnt(0)
	s_barrier
	ds_read_b128 v[42:45], v17
	ds_read_b128 v[46:49], v16 offset:512
	ds_read_b128 v[50:53], v17 offset:4608
	s_waitcnt lgkmcnt(1)
	;;#ASMSTART
	v_dot2_f32_f16 v40, v42, v46, v40
	;;#ASMEND
	;;#ASMSTART
	v_dot2_f32_f16 v40, v43, v47, v40
	;;#ASMEND
	;;#ASMSTART
	v_dot2_f32_f16 v40, v44, v48, v40
	;;#ASMEND
	;;#ASMSTART
	v_dot2_f32_f16 v40, v45, v49, v40
	;;#ASMEND
	s_waitcnt lgkmcnt(0)
	;;#ASMSTART
	v_dot2_f32_f16 v41, v50, v46, v41
	;;#ASMEND
	;;#ASMSTART
	v_dot2_f32_f16 v41, v51, v47, v41
	;;#ASMEND
	;;#ASMSTART
	v_dot2_f32_f16 v41, v52, v48, v41
	;;#ASMEND
	;;#ASMSTART
	v_dot2_f32_f16 v41, v53, v49, v41
	;;#ASMEND
	ds_read_b128 v[42:45], v17 offset:16
	ds_read_b128 v[46:49], v16 offset:528
	ds_read_b128 v[50:53], v17 offset:4624
	s_waitcnt lgkmcnt(1)
	;;#ASMSTART
	v_dot2_f32_f16 v40, v42, v46, v40
	;;#ASMEND
	;;#ASMSTART
	v_dot2_f32_f16 v40, v43, v47, v40
	;;#ASMEND
	;;#ASMSTART
	v_dot2_f32_f16 v40, v44, v48, v40
	;;#ASMEND
	;;#ASMSTART
	v_dot2_f32_f16 v40, v45, v49, v40
	;;#ASMEND
	s_waitcnt lgkmcnt(0)
	;;#ASMSTART
	v_dot2_f32_f16 v41, v50, v46, v41
	;;#ASMEND
	;;#ASMSTART
	v_dot2_f32_f16 v41, v51, v47, v41
	;;#ASMEND
	;;#ASMSTART
	v_dot2_f32_f16 v41, v52, v48, v41
	;;#ASMEND
	;;#ASMSTART
	v_dot2_f32_f16 v41, v53, v49, v41
	;;#ASMEND
	ds_read_b128 v[42:45], v17 offset:32
	;; [unrolled: 29-line block ×7, first 2 shown]
	ds_read_b128 v[46:49], v16 offset:624
	ds_read_b128 v[50:53], v17 offset:4720
	s_waitcnt lgkmcnt(1)
	;;#ASMSTART
	v_dot2_f32_f16 v40, v42, v46, v40
	;;#ASMEND
	;;#ASMSTART
	v_dot2_f32_f16 v40, v43, v47, v40
	;;#ASMEND
	;; [unrolled: 3-line block ×4, first 2 shown]
	s_waitcnt lgkmcnt(0)
	;;#ASMSTART
	v_dot2_f32_f16 v41, v50, v46, v41
	;;#ASMEND
	;;#ASMSTART
	v_dot2_f32_f16 v41, v51, v47, v41
	;;#ASMEND
	;; [unrolled: 3-line block ×4, first 2 shown]
	s_barrier
	global_load_dwordx4 v[42:45], v[8:9], off offset:640
	global_load_dwordx4 v[46:49], v[10:11], off offset:640
	s_waitcnt vmcnt(1)
	ds_write_b128 v14, v[42:45]
	s_waitcnt vmcnt(0)
	ds_write_b128 v15, v[46:49]
	s_waitcnt lgkmcnt(0)
	s_barrier
	ds_read_b128 v[42:45], v17
	ds_read_b128 v[46:49], v16 offset:640
	ds_read_b128 v[50:53], v17 offset:4608
	s_waitcnt lgkmcnt(1)
	;;#ASMSTART
	v_dot2_f32_f16 v40, v42, v46, v40
	;;#ASMEND
	;;#ASMSTART
	v_dot2_f32_f16 v40, v43, v47, v40
	;;#ASMEND
	;;#ASMSTART
	v_dot2_f32_f16 v40, v44, v48, v40
	;;#ASMEND
	;;#ASMSTART
	v_dot2_f32_f16 v40, v45, v49, v40
	;;#ASMEND
	s_waitcnt lgkmcnt(0)
	;;#ASMSTART
	v_dot2_f32_f16 v41, v50, v46, v41
	;;#ASMEND
	;;#ASMSTART
	v_dot2_f32_f16 v41, v51, v47, v41
	;;#ASMEND
	;;#ASMSTART
	v_dot2_f32_f16 v41, v52, v48, v41
	;;#ASMEND
	;;#ASMSTART
	v_dot2_f32_f16 v41, v53, v49, v41
	;;#ASMEND
	ds_read_b128 v[42:45], v17 offset:16
	ds_read_b128 v[46:49], v16 offset:656
	ds_read_b128 v[50:53], v17 offset:4624
	s_waitcnt lgkmcnt(1)
	;;#ASMSTART
	v_dot2_f32_f16 v40, v42, v46, v40
	;;#ASMEND
	;;#ASMSTART
	v_dot2_f32_f16 v40, v43, v47, v40
	;;#ASMEND
	;;#ASMSTART
	v_dot2_f32_f16 v40, v44, v48, v40
	;;#ASMEND
	;;#ASMSTART
	v_dot2_f32_f16 v40, v45, v49, v40
	;;#ASMEND
	s_waitcnt lgkmcnt(0)
	;;#ASMSTART
	v_dot2_f32_f16 v41, v50, v46, v41
	;;#ASMEND
	;;#ASMSTART
	v_dot2_f32_f16 v41, v51, v47, v41
	;;#ASMEND
	;;#ASMSTART
	v_dot2_f32_f16 v41, v52, v48, v41
	;;#ASMEND
	;;#ASMSTART
	v_dot2_f32_f16 v41, v53, v49, v41
	;;#ASMEND
	ds_read_b128 v[42:45], v17 offset:32
	;; [unrolled: 29-line block ×7, first 2 shown]
	ds_read_b128 v[46:49], v16 offset:752
	ds_read_b128 v[50:53], v17 offset:4720
	s_waitcnt lgkmcnt(1)
	;;#ASMSTART
	v_dot2_f32_f16 v40, v42, v46, v40
	;;#ASMEND
	;;#ASMSTART
	v_dot2_f32_f16 v40, v43, v47, v40
	;;#ASMEND
	;; [unrolled: 3-line block ×4, first 2 shown]
	s_waitcnt lgkmcnt(0)
	;;#ASMSTART
	v_dot2_f32_f16 v41, v50, v46, v41
	;;#ASMEND
	;;#ASMSTART
	v_dot2_f32_f16 v41, v51, v47, v41
	;;#ASMEND
	;; [unrolled: 3-line block ×4, first 2 shown]
	s_barrier
	global_load_dwordx4 v[42:45], v[8:9], off offset:768
	global_load_dwordx4 v[46:49], v[10:11], off offset:768
	s_waitcnt vmcnt(1)
	ds_write_b128 v14, v[42:45]
	s_waitcnt vmcnt(0)
	ds_write_b128 v15, v[46:49]
	s_waitcnt lgkmcnt(0)
	s_barrier
	ds_read_b128 v[42:45], v17
	ds_read_b128 v[46:49], v16 offset:768
	ds_read_b128 v[50:53], v17 offset:4608
	s_waitcnt lgkmcnt(1)
	;;#ASMSTART
	v_dot2_f32_f16 v40, v42, v46, v40
	;;#ASMEND
	;;#ASMSTART
	v_dot2_f32_f16 v40, v43, v47, v40
	;;#ASMEND
	;;#ASMSTART
	v_dot2_f32_f16 v40, v44, v48, v40
	;;#ASMEND
	;;#ASMSTART
	v_dot2_f32_f16 v40, v45, v49, v40
	;;#ASMEND
	s_waitcnt lgkmcnt(0)
	;;#ASMSTART
	v_dot2_f32_f16 v41, v50, v46, v41
	;;#ASMEND
	;;#ASMSTART
	v_dot2_f32_f16 v41, v51, v47, v41
	;;#ASMEND
	;;#ASMSTART
	v_dot2_f32_f16 v41, v52, v48, v41
	;;#ASMEND
	;;#ASMSTART
	v_dot2_f32_f16 v41, v53, v49, v41
	;;#ASMEND
	ds_read_b128 v[42:45], v17 offset:16
	ds_read_b128 v[46:49], v16 offset:784
	ds_read_b128 v[50:53], v17 offset:4624
	s_waitcnt lgkmcnt(1)
	;;#ASMSTART
	v_dot2_f32_f16 v40, v42, v46, v40
	;;#ASMEND
	;;#ASMSTART
	v_dot2_f32_f16 v40, v43, v47, v40
	;;#ASMEND
	;;#ASMSTART
	v_dot2_f32_f16 v40, v44, v48, v40
	;;#ASMEND
	;;#ASMSTART
	v_dot2_f32_f16 v40, v45, v49, v40
	;;#ASMEND
	s_waitcnt lgkmcnt(0)
	;;#ASMSTART
	v_dot2_f32_f16 v41, v50, v46, v41
	;;#ASMEND
	;;#ASMSTART
	v_dot2_f32_f16 v41, v51, v47, v41
	;;#ASMEND
	;;#ASMSTART
	v_dot2_f32_f16 v41, v52, v48, v41
	;;#ASMEND
	;;#ASMSTART
	v_dot2_f32_f16 v41, v53, v49, v41
	;;#ASMEND
	ds_read_b128 v[42:45], v17 offset:32
	;; [unrolled: 29-line block ×7, first 2 shown]
	ds_read_b128 v[46:49], v16 offset:880
	ds_read_b128 v[50:53], v17 offset:4720
	s_waitcnt lgkmcnt(1)
	;;#ASMSTART
	v_dot2_f32_f16 v40, v42, v46, v40
	;;#ASMEND
	;;#ASMSTART
	v_dot2_f32_f16 v40, v43, v47, v40
	;;#ASMEND
	;; [unrolled: 3-line block ×4, first 2 shown]
	s_waitcnt lgkmcnt(0)
	;;#ASMSTART
	v_dot2_f32_f16 v41, v50, v46, v41
	;;#ASMEND
	;;#ASMSTART
	v_dot2_f32_f16 v41, v51, v47, v41
	;;#ASMEND
	;; [unrolled: 3-line block ×4, first 2 shown]
	s_barrier
	global_load_dwordx4 v[42:45], v[8:9], off offset:896
	global_load_dwordx4 v[46:49], v[10:11], off offset:896
	s_waitcnt vmcnt(1)
	ds_write_b128 v14, v[42:45]
	s_waitcnt vmcnt(0)
	ds_write_b128 v15, v[46:49]
	s_waitcnt lgkmcnt(0)
	s_barrier
	ds_read_b128 v[8:11], v17
	ds_read_b128 v[42:45], v16 offset:896
	ds_read_b128 v[46:49], v17 offset:4608
	s_waitcnt lgkmcnt(1)
	;;#ASMSTART
	v_dot2_f32_f16 v40, v8, v42, v40
	;;#ASMEND
	;;#ASMSTART
	v_dot2_f32_f16 v40, v9, v43, v40
	;;#ASMEND
	;;#ASMSTART
	v_dot2_f32_f16 v40, v10, v44, v40
	;;#ASMEND
	;;#ASMSTART
	v_dot2_f32_f16 v40, v11, v45, v40
	;;#ASMEND
	s_waitcnt lgkmcnt(0)
	;;#ASMSTART
	v_dot2_f32_f16 v41, v46, v42, v41
	;;#ASMEND
	;;#ASMSTART
	v_dot2_f32_f16 v41, v47, v43, v41
	;;#ASMEND
	;;#ASMSTART
	v_dot2_f32_f16 v41, v48, v44, v41
	;;#ASMEND
	;;#ASMSTART
	v_dot2_f32_f16 v41, v49, v45, v41
	;;#ASMEND
	ds_read_b128 v[8:11], v17 offset:16
	ds_read_b128 v[42:45], v16 offset:912
	ds_read_b128 v[46:49], v17 offset:4624
	s_waitcnt lgkmcnt(1)
	;;#ASMSTART
	v_dot2_f32_f16 v40, v8, v42, v40
	;;#ASMEND
	;;#ASMSTART
	v_dot2_f32_f16 v40, v9, v43, v40
	;;#ASMEND
	;;#ASMSTART
	v_dot2_f32_f16 v40, v10, v44, v40
	;;#ASMEND
	;;#ASMSTART
	v_dot2_f32_f16 v40, v11, v45, v40
	;;#ASMEND
	s_waitcnt lgkmcnt(0)
	;;#ASMSTART
	v_dot2_f32_f16 v41, v46, v42, v41
	;;#ASMEND
	;;#ASMSTART
	v_dot2_f32_f16 v41, v47, v43, v41
	;;#ASMEND
	;;#ASMSTART
	v_dot2_f32_f16 v41, v48, v44, v41
	;;#ASMEND
	;;#ASMSTART
	v_dot2_f32_f16 v41, v49, v45, v41
	;;#ASMEND
	ds_read_b128 v[8:11], v17 offset:32
	;; [unrolled: 29-line block ×7, first 2 shown]
	ds_read_b128 v[42:45], v16 offset:1008
	ds_read_b128 v[46:49], v17 offset:4720
	s_waitcnt lgkmcnt(1)
	;;#ASMSTART
	v_dot2_f32_f16 v40, v8, v42, v40
	;;#ASMEND
	;;#ASMSTART
	v_dot2_f32_f16 v40, v9, v43, v40
	;;#ASMEND
	;; [unrolled: 3-line block ×4, first 2 shown]
	s_waitcnt lgkmcnt(0)
	;;#ASMSTART
	v_dot2_f32_f16 v41, v46, v42, v41
	;;#ASMEND
	;;#ASMSTART
	v_dot2_f32_f16 v41, v47, v43, v41
	;;#ASMEND
	;; [unrolled: 3-line block ×3, first 2 shown]
	v_cmp_nlt_f32_e64 s[8:9], |v40|, s12
	;;#ASMSTART
	v_dot2_f32_f16 v41, v49, v45, v41
	;;#ASMEND
                                        ; implicit-def: $vgpr10
	s_and_saveexec_b64 s[26:27], s[8:9]
	s_xor_b64 s[8:9], exec, s[26:27]
	s_cbranch_execz .LBB28_11
; %bb.10:                               ;   in Loop: Header=BB28_9 Depth=1
	v_add_f32_e64 v8, |v40|, |v40|
	v_mul_f32_e32 v9, 0x3fb8aa3b, v8
	v_rndne_f32_e32 v10, v9
	v_sub_f32_e32 v11, v9, v10
	v_fma_f32 v9, v8, s13, -v9
	v_fmac_f32_e32 v9, 0x32a5705f, v8
	v_add_f32_e32 v9, v11, v9
	v_cvt_i32_f32_e32 v10, v10
	v_exp_f32_e32 v9, v9
	v_cmp_ngt_f32_e32 vcc, s19, v8
	v_ldexp_f32 v9, v9, v10
	v_cndmask_b32_e32 v9, 0, v9, vcc
	v_cmp_nlt_f32_e32 vcc, s24, v8
	v_cndmask_b32_e32 v8, v29, v9, vcc
	v_add_f32_e32 v8, 1.0, v8
	v_rcp_f32_e32 v8, v8
	v_fma_f32 v10, v8, -2.0, 1.0
.LBB28_11:                              ;   in Loop: Header=BB28_9 Depth=1
	s_andn2_saveexec_b64 s[8:9], s[8:9]
; %bb.12:                               ;   in Loop: Header=BB28_9 Depth=1
	v_mul_f32_e32 v8, v40, v40
	v_mov_b32_e32 v9, 0x3ca908c9
	v_fmac_f32_e32 v9, 0xbbbac73d, v8
	v_fma_f32 v9, v8, v9, v26
	v_fma_f32 v9, v8, v9, v27
	;; [unrolled: 1-line block ×3, first 2 shown]
	v_mul_f32_e64 v9, |v40|, v9
	v_fma_f32 v10, v8, v9, |v40|
; %bb.13:                               ;   in Loop: Header=BB28_9 Depth=1
	s_or_b64 exec, exec, s[8:9]
	v_add_u32_e32 v8, s6, v2
	v_ashrrev_i32_e32 v9, 31, v8
	v_lshlrev_b64 v[8:9], 1, v[8:9]
	v_mov_b32_e32 v11, s31
	v_add_co_u32_e32 v8, vcc, s30, v8
	v_addc_co_u32_e32 v9, vcc, v11, v9, vcc
	flat_load_ushort v11, v[8:9]
	v_cmp_nlt_f32_e64 s[8:9], |v41|, s12
                                        ; implicit-def: $vgpr42
	s_and_saveexec_b64 s[26:27], s[8:9]
	s_xor_b64 s[8:9], exec, s[26:27]
	s_cbranch_execz .LBB28_15
; %bb.14:                               ;   in Loop: Header=BB28_9 Depth=1
	v_add_f32_e64 v42, |v41|, |v41|
	v_mul_f32_e32 v43, 0x3fb8aa3b, v42
	v_rndne_f32_e32 v44, v43
	v_sub_f32_e32 v45, v43, v44
	v_fma_f32 v43, v42, s13, -v43
	v_fmac_f32_e32 v43, 0x32a5705f, v42
	v_add_f32_e32 v43, v45, v43
	v_cvt_i32_f32_e32 v44, v44
	v_exp_f32_e32 v43, v43
	v_cmp_ngt_f32_e32 vcc, s19, v42
	v_ldexp_f32 v43, v43, v44
	v_cndmask_b32_e32 v43, 0, v43, vcc
	v_cmp_nlt_f32_e32 vcc, s24, v42
	v_cndmask_b32_e32 v42, v29, v43, vcc
	v_add_f32_e32 v42, 1.0, v42
	v_rcp_f32_e32 v42, v42
	v_fma_f32 v42, v42, -2.0, 1.0
.LBB28_15:                              ;   in Loop: Header=BB28_9 Depth=1
	s_andn2_saveexec_b64 s[8:9], s[8:9]
; %bb.16:                               ;   in Loop: Header=BB28_9 Depth=1
	v_mul_f32_e32 v42, v41, v41
	v_mov_b32_e32 v43, 0x3ca908c9
	v_fmac_f32_e32 v43, 0xbbbac73d, v42
	v_fma_f32 v43, v42, v43, v26
	v_fma_f32 v43, v42, v43, v27
	;; [unrolled: 1-line block ×3, first 2 shown]
	v_mul_f32_e64 v43, |v41|, v43
	v_fma_f32 v42, v42, v43, |v41|
; %bb.17:                               ;   in Loop: Header=BB28_9 Depth=1
	s_or_b64 exec, exec, s[8:9]
	flat_load_ushort v8, v[8:9] offset:64
	v_bfi_b32 v10, s25, v10, v40
	s_waitcnt vmcnt(0) lgkmcnt(0)
	v_fma_mix_f32 v43, v10, s14, v11 op_sel_hi:[0,0,1]
	v_bfi_b32 v11, s25, v42, v41
	v_add_f32_e32 v10, 0x40051340, v43
	v_and_b32_e32 v9, 0x60, v3
	v_add_u32_e32 v9, 32, v9
	s_mul_hi_i32 s9, s6, s15
	s_mul_i32 s8, s6, s15
	s_lshl_b64 s[8:9], s[8:9], 2
	s_barrier
	v_fma_mix_f32 v44, v11, s14, v8 op_sel_hi:[0,0,1]
	v_add_f32_e32 v8, 0x40051340, v44
	v_max3_f32 v8, v39, v10, v8
	v_xor_b32_e32 v10, 16, v3
	v_cmp_lt_i32_e32 vcc, v10, v9
	v_cndmask_b32_e32 v11, v3, v10, vcc
	v_lshlrev_b32_e32 v11, 2, v11
	ds_bpermute_b32 v11, v11, v8
	s_waitcnt lgkmcnt(0)
	v_max_f32_e32 v11, v11, v11
	v_max_f32_e32 v8, v8, v11
	v_xor_b32_e32 v11, 8, v3
	v_cmp_lt_i32_e32 vcc, v11, v9
	v_cndmask_b32_e32 v40, v3, v11, vcc
	v_lshlrev_b32_e32 v40, 2, v40
	ds_bpermute_b32 v40, v40, v8
	s_waitcnt lgkmcnt(0)
	v_max_f32_e32 v40, v40, v40
	v_max_f32_e32 v8, v8, v40
	v_xor_b32_e32 v40, 4, v3
	v_cmp_lt_i32_e32 vcc, v40, v9
	v_cndmask_b32_e32 v41, v3, v40, vcc
	v_lshlrev_b32_e32 v41, 2, v41
	ds_bpermute_b32 v41, v41, v8
	s_waitcnt lgkmcnt(0)
	v_max_f32_e32 v41, v41, v41
	v_max_f32_e32 v8, v8, v41
	v_xor_b32_e32 v41, 2, v3
	v_cmp_lt_i32_e32 vcc, v41, v9
	v_cndmask_b32_e32 v42, v3, v41, vcc
	v_lshlrev_b32_e32 v42, 2, v42
	ds_bpermute_b32 v42, v42, v8
	s_waitcnt lgkmcnt(0)
	v_max_f32_e32 v42, v42, v42
	v_max_f32_e32 v8, v8, v42
	v_xor_b32_e32 v42, 1, v3
	v_cmp_lt_i32_e32 vcc, v42, v9
	v_cndmask_b32_e32 v45, v3, v42, vcc
	v_lshlrev_b32_e32 v45, 2, v45
	ds_bpermute_b32 v45, v45, v8
	s_waitcnt lgkmcnt(0)
	v_max_f32_e32 v45, v45, v45
	v_max_f32_e32 v8, v8, v45
	v_sub_f32_e32 v43, v43, v8
	v_mul_f32_e32 v45, 0x3fb8aa3b, v43
	v_fma_f32 v46, v43, s13, -v45
	v_rndne_f32_e32 v47, v45
	v_fmac_f32_e32 v46, 0x32a5705f, v43
	v_sub_f32_e32 v45, v45, v47
	v_add_f32_e32 v45, v45, v46
	v_exp_f32_e32 v45, v45
	v_cvt_i32_f32_e32 v46, v47
	v_sub_f32_e32 v44, v44, v8
	v_cmp_ngt_f32_e32 vcc, s19, v43
	v_sub_f32_e32 v39, v39, v8
	v_ldexp_f32 v45, v45, v46
	v_mul_f32_e32 v46, 0x3fb8aa3b, v44
	v_fma_f32 v47, v44, s13, -v46
	v_rndne_f32_e32 v48, v46
	v_fmac_f32_e32 v47, 0x32a5705f, v44
	v_sub_f32_e32 v46, v46, v48
	v_add_f32_e32 v46, v46, v47
	v_exp_f32_e32 v46, v46
	v_cvt_i32_f32_e32 v47, v48
	v_cndmask_b32_e32 v45, 0, v45, vcc
	v_cmp_nlt_f32_e32 vcc, s24, v43
	v_cndmask_b32_e32 v43, v29, v45, vcc
	v_ldexp_f32 v46, v46, v47
	v_cmp_ngt_f32_e32 vcc, s19, v44
	v_cndmask_b32_e32 v46, 0, v46, vcc
	v_cmp_nlt_f32_e32 vcc, s24, v44
	v_cndmask_b32_e32 v44, v29, v46, vcc
	v_mul_f32_e32 v46, 0x3fb8aa3b, v39
	v_fma_f32 v47, v39, s13, -v46
	v_rndne_f32_e32 v48, v46
	v_fmac_f32_e32 v47, 0x32a5705f, v39
	v_sub_f32_e32 v46, v46, v48
	v_add_f32_e32 v46, v46, v47
	v_exp_f32_e32 v46, v46
	v_cvt_i32_f32_e32 v47, v48
	v_cmp_ngt_f32_e32 vcc, s19, v39
	v_cvt_f16_f32_e32 v45, v43
	v_add_f32_e32 v43, v43, v44
	v_ldexp_f32 v46, v46, v47
	v_cndmask_b32_e32 v46, 0, v46, vcc
	v_cmp_nlt_f32_e32 vcc, s24, v39
	v_cndmask_b32_e32 v39, v29, v46, vcc
	v_cvt_f16_f32_e32 v52, v39
	v_cvt_f16_f32_e32 v44, v44
	v_fmac_f32_e32 v43, v38, v39
	v_add_co_u32_e32 v38, vcc, s8, v23
	v_pk_mul_f16 v56, v52, v34 op_sel_hi:[0,1]
	v_mov_b32_e32 v34, s9
	ds_write_b16 v19, v45
	ds_write_b16 v19, v44 offset:64
	v_addc_co_u32_e32 v39, vcc, v24, v34, vcc
	v_pk_mul_f16 v53, v52, v37 op_sel_hi:[0,1]
	v_pk_mul_f16 v54, v52, v36 op_sel_hi:[0,1]
	;; [unrolled: 1-line block ×3, first 2 shown]
	global_load_dwordx4 v[34:37], v[38:39], off
	v_pk_mul_f16 v33, v52, v33 op_sel_hi:[0,1]
	v_pk_mul_f16 v30, v52, v30 op_sel_hi:[0,1]
	s_or_b32 s8, s6, 8
	s_mul_hi_i32 s9, s8, s15
	s_mul_i32 s8, s8, s15
	s_lshl_b64 s[8:9], s[8:9], 2
	s_waitcnt vmcnt(0)
	ds_write_b128 v20, v[34:37]
	global_load_dwordx4 v[34:37], v[38:39], off offset:512
	s_waitcnt vmcnt(0)
	ds_write_b128 v21, v[34:37]
	s_waitcnt lgkmcnt(0)
	s_barrier
	ds_read2_b64 v[34:37], v22 offset1:32
	ds_read2_b64 v[44:47], v22 offset0:64 offset1:96
	ds_read_b128 v[48:51], v18
	s_waitcnt lgkmcnt(0)
	v_pk_mul_f16 v34, v34, v48 op_sel_hi:[1,0]
	v_pk_fma_f16 v38, v32, v52, v34 op_sel_hi:[1,0,1]
	v_pk_mul_f16 v32, v35, v48 op_sel_hi:[1,0]
	v_pk_fma_f16 v39, v31, v52, v32 op_sel_hi:[1,0,1]
	v_pk_fma_f16 v52, v36, v48, v53 op_sel_hi:[1,0,1]
	v_pk_fma_f16 v53, v37, v48, v54 op_sel_hi:[1,0,1]
	v_pk_fma_f16 v46, v46, v48, v33 op_sel_hi:[1,0,1]
	v_pk_fma_f16 v47, v47, v48, v30 op_sel_hi:[1,0,1]
	ds_read2_b64 v[30:33], v22 offset0:128 offset1:160
	ds_read2_b64 v[34:37], v22 offset0:192 offset1:224
	v_pk_fma_f16 v44, v44, v48, v55 op_sel_hi:[1,0,1]
	v_pk_fma_f16 v45, v45, v48, v56 op_sel_hi:[1,0,1]
	s_waitcnt lgkmcnt(1)
	v_pk_fma_f16 v54, v30, v48, v38 op_sel:[0,1,0]
	v_add_u32_e32 v30, 0x800, v22
	v_pk_fma_f16 v31, v31, v48, v39 op_sel:[0,1,0]
	v_pk_fma_f16 v52, v32, v48, v52 op_sel:[0,1,0]
	v_pk_fma_f16 v53, v33, v48, v53 op_sel:[0,1,0]
	s_waitcnt lgkmcnt(0)
	v_pk_fma_f16 v44, v34, v48, v44 op_sel:[0,1,0]
	v_pk_fma_f16 v45, v35, v48, v45 op_sel:[0,1,0]
	v_pk_fma_f16 v46, v36, v48, v46 op_sel:[0,1,0]
	v_pk_fma_f16 v47, v37, v48, v47 op_sel:[0,1,0]
	ds_read2_b64 v[32:35], v30 offset1:32
	ds_read2_b64 v[36:39], v30 offset0:64 offset1:96
	s_waitcnt lgkmcnt(1)
	v_pk_fma_f16 v48, v32, v49, v54 op_sel_hi:[1,0,1]
	v_pk_fma_f16 v31, v33, v49, v31 op_sel_hi:[1,0,1]
	v_pk_fma_f16 v52, v34, v49, v52 op_sel_hi:[1,0,1]
	v_pk_fma_f16 v53, v35, v49, v53 op_sel_hi:[1,0,1]
	s_waitcnt lgkmcnt(0)
	v_pk_fma_f16 v44, v36, v49, v44 op_sel_hi:[1,0,1]
	v_pk_fma_f16 v45, v37, v49, v45 op_sel_hi:[1,0,1]
	v_pk_fma_f16 v46, v38, v49, v46 op_sel_hi:[1,0,1]
	v_pk_fma_f16 v47, v39, v49, v47 op_sel_hi:[1,0,1]
	ds_read2_b64 v[32:35], v30 offset0:128 offset1:160
	ds_read2_b64 v[36:39], v30 offset0:192 offset1:224
	s_waitcnt lgkmcnt(1)
	v_pk_fma_f16 v54, v33, v49, v31 op_sel:[0,1,0]
	v_add_u32_e32 v31, 0x1000, v22
	v_pk_fma_f16 v48, v32, v49, v48 op_sel:[0,1,0]
	v_pk_fma_f16 v52, v34, v49, v52 op_sel:[0,1,0]
	v_pk_fma_f16 v53, v35, v49, v53 op_sel:[0,1,0]
	s_waitcnt lgkmcnt(0)
	v_pk_fma_f16 v44, v36, v49, v44 op_sel:[0,1,0]
	v_pk_fma_f16 v45, v37, v49, v45 op_sel:[0,1,0]
	v_pk_fma_f16 v46, v38, v49, v46 op_sel:[0,1,0]
	v_pk_fma_f16 v47, v39, v49, v47 op_sel:[0,1,0]
	ds_read2_b64 v[32:35], v31 offset1:32
	ds_read2_b64 v[36:39], v31 offset0:64 offset1:96
	s_waitcnt lgkmcnt(1)
	v_pk_fma_f16 v48, v32, v50, v48 op_sel_hi:[1,0,1]
	v_pk_fma_f16 v49, v33, v50, v54 op_sel_hi:[1,0,1]
	v_pk_fma_f16 v52, v34, v50, v52 op_sel_hi:[1,0,1]
	v_pk_fma_f16 v53, v35, v50, v53 op_sel_hi:[1,0,1]
	s_waitcnt lgkmcnt(0)
	v_pk_fma_f16 v44, v36, v50, v44 op_sel_hi:[1,0,1]
	v_pk_fma_f16 v45, v37, v50, v45 op_sel_hi:[1,0,1]
	v_pk_fma_f16 v46, v38, v50, v46 op_sel_hi:[1,0,1]
	v_pk_fma_f16 v47, v39, v50, v47 op_sel_hi:[1,0,1]
	ds_read2_b64 v[32:35], v31 offset0:128 offset1:160
	ds_read2_b64 v[36:39], v31 offset0:192 offset1:224
	;; [unrolled: 25-line block ×3, first 2 shown]
	s_waitcnt lgkmcnt(0)
	s_barrier
	v_pk_fma_f16 v54, v34, v51, v48 op_sel:[0,1,0]
	v_pk_fma_f16 v57, v46, v51, v38 op_sel:[0,1,0]
	v_add_co_u32_e32 v38, vcc, s8, v23
	v_mov_b32_e32 v34, s9
	v_pk_fma_f16 v58, v47, v51, v39 op_sel:[0,1,0]
	v_addc_co_u32_e32 v39, vcc, v24, v34, vcc
	v_pk_fma_f16 v33, v35, v51, v33 op_sel:[0,1,0]
	v_pk_fma_f16 v55, v36, v51, v49 op_sel:[0,1,0]
	;; [unrolled: 1-line block ×3, first 2 shown]
	global_load_dwordx4 v[34:37], v[38:39], off
	v_pk_fma_f16 v52, v44, v51, v52 op_sel:[0,1,0]
	v_pk_fma_f16 v53, v45, v51, v53 op_sel:[0,1,0]
	s_or_b32 s8, s6, 16
	s_mul_hi_i32 s9, s8, s15
	s_mul_i32 s8, s8, s15
	s_lshl_b64 s[8:9], s[8:9], 2
	s_waitcnt vmcnt(0)
	ds_write_b128 v20, v[34:37]
	global_load_dwordx4 v[34:37], v[38:39], off offset:512
	s_waitcnt vmcnt(0)
	ds_write_b128 v21, v[34:37]
	s_waitcnt lgkmcnt(0)
	s_barrier
	ds_read2_b64 v[34:37], v22 offset1:32
	ds_read2_b64 v[44:47], v22 offset0:64 offset1:96
	ds_read_b128 v[48:51], v18 offset:16
	s_waitcnt lgkmcnt(0)
	v_pk_fma_f16 v38, v34, v48, v54 op_sel_hi:[1,0,1]
	v_pk_fma_f16 v33, v35, v48, v33 op_sel_hi:[1,0,1]
	;; [unrolled: 1-line block ×8, first 2 shown]
	ds_read2_b64 v[34:37], v22 offset0:128 offset1:160
	ds_read2_b64 v[44:47], v22 offset0:192 offset1:224
	s_waitcnt lgkmcnt(1)
	v_pk_fma_f16 v38, v34, v48, v38 op_sel:[0,1,0]
	v_pk_fma_f16 v33, v35, v48, v33 op_sel:[0,1,0]
	v_pk_fma_f16 v39, v36, v48, v39 op_sel:[0,1,0]
	v_pk_fma_f16 v54, v37, v48, v54 op_sel:[0,1,0]
	s_waitcnt lgkmcnt(0)
	v_pk_fma_f16 v52, v44, v48, v52 op_sel:[0,1,0]
	v_pk_fma_f16 v53, v45, v48, v53 op_sel:[0,1,0]
	v_pk_fma_f16 v55, v46, v48, v55 op_sel:[0,1,0]
	v_pk_fma_f16 v48, v47, v48, v56 op_sel:[0,1,0]
	ds_read2_b64 v[34:37], v30 offset1:32
	ds_read2_b64 v[44:47], v30 offset0:64 offset1:96
	s_waitcnt lgkmcnt(1)
	v_pk_fma_f16 v38, v34, v49, v38 op_sel_hi:[1,0,1]
	v_pk_fma_f16 v33, v35, v49, v33 op_sel_hi:[1,0,1]
	v_pk_fma_f16 v39, v36, v49, v39 op_sel_hi:[1,0,1]
	v_pk_fma_f16 v54, v37, v49, v54 op_sel_hi:[1,0,1]
	s_waitcnt lgkmcnt(0)
	v_pk_fma_f16 v52, v44, v49, v52 op_sel_hi:[1,0,1]
	v_pk_fma_f16 v53, v45, v49, v53 op_sel_hi:[1,0,1]
	v_pk_fma_f16 v55, v46, v49, v55 op_sel_hi:[1,0,1]
	v_pk_fma_f16 v48, v47, v49, v48 op_sel_hi:[1,0,1]
	ds_read2_b64 v[34:37], v30 offset0:128 offset1:160
	ds_read2_b64 v[44:47], v30 offset0:192 offset1:224
	s_waitcnt lgkmcnt(1)
	v_pk_fma_f16 v38, v34, v49, v38 op_sel:[0,1,0]
	v_pk_fma_f16 v33, v35, v49, v33 op_sel:[0,1,0]
	v_pk_fma_f16 v39, v36, v49, v39 op_sel:[0,1,0]
	v_pk_fma_f16 v54, v37, v49, v54 op_sel:[0,1,0]
	s_waitcnt lgkmcnt(0)
	v_pk_fma_f16 v52, v44, v49, v52 op_sel:[0,1,0]
	v_pk_fma_f16 v53, v45, v49, v53 op_sel:[0,1,0]
	v_pk_fma_f16 v55, v46, v49, v55 op_sel:[0,1,0]
	v_pk_fma_f16 v48, v47, v49, v48 op_sel:[0,1,0]
	ds_read2_b64 v[34:37], v31 offset1:32
	ds_read2_b64 v[44:47], v31 offset0:64 offset1:96
	s_waitcnt lgkmcnt(1)
	v_pk_fma_f16 v38, v34, v50, v38 op_sel_hi:[1,0,1]
	v_pk_fma_f16 v33, v35, v50, v33 op_sel_hi:[1,0,1]
	v_pk_fma_f16 v39, v36, v50, v39 op_sel_hi:[1,0,1]
	v_pk_fma_f16 v49, v37, v50, v54 op_sel_hi:[1,0,1]
	s_waitcnt lgkmcnt(0)
	v_pk_fma_f16 v52, v44, v50, v52 op_sel_hi:[1,0,1]
	v_pk_fma_f16 v53, v45, v50, v53 op_sel_hi:[1,0,1]
	v_pk_fma_f16 v54, v46, v50, v55 op_sel_hi:[1,0,1]
	v_pk_fma_f16 v48, v47, v50, v48 op_sel_hi:[1,0,1]
	;; [unrolled: 24-line block ×3, first 2 shown]
	ds_read2_b64 v[34:37], v32 offset0:128 offset1:160
	ds_read2_b64 v[44:47], v32 offset0:192 offset1:224
	s_waitcnt lgkmcnt(0)
	s_barrier
	v_pk_fma_f16 v54, v34, v51, v38 op_sel:[0,1,0]
	v_add_co_u32_e32 v38, vcc, s8, v23
	v_mov_b32_e32 v34, s9
	v_pk_fma_f16 v55, v36, v51, v39 op_sel:[0,1,0]
	v_addc_co_u32_e32 v39, vcc, v24, v34, vcc
	v_pk_fma_f16 v33, v35, v51, v33 op_sel:[0,1,0]
	v_pk_fma_f16 v56, v37, v51, v49 op_sel:[0,1,0]
	global_load_dwordx4 v[34:37], v[38:39], off
	v_pk_fma_f16 v57, v44, v51, v50 op_sel:[0,1,0]
	v_pk_fma_f16 v52, v45, v51, v52 op_sel:[0,1,0]
	;; [unrolled: 1-line block ×4, first 2 shown]
	s_or_b32 s8, s6, 24
	s_mul_hi_i32 s9, s8, s15
	s_mul_i32 s8, s8, s15
	s_lshl_b64 s[8:9], s[8:9], 2
	s_waitcnt vmcnt(0)
	ds_write_b128 v20, v[34:37]
	global_load_dwordx4 v[34:37], v[38:39], off offset:512
	s_waitcnt vmcnt(0)
	ds_write_b128 v21, v[34:37]
	s_waitcnt lgkmcnt(0)
	s_barrier
	ds_read2_b64 v[34:37], v22 offset1:32
	ds_read2_b64 v[44:47], v22 offset0:64 offset1:96
	ds_read_b128 v[48:51], v18 offset:32
	s_waitcnt lgkmcnt(0)
	v_pk_fma_f16 v38, v34, v48, v54 op_sel_hi:[1,0,1]
	v_pk_fma_f16 v33, v35, v48, v33 op_sel_hi:[1,0,1]
	v_pk_fma_f16 v39, v36, v48, v55 op_sel_hi:[1,0,1]
	v_pk_fma_f16 v54, v37, v48, v56 op_sel_hi:[1,0,1]
	v_pk_fma_f16 v55, v44, v48, v57 op_sel_hi:[1,0,1]
	v_pk_fma_f16 v52, v45, v48, v52 op_sel_hi:[1,0,1]
	v_pk_fma_f16 v53, v46, v48, v53 op_sel_hi:[1,0,1]
	v_pk_fma_f16 v56, v47, v48, v58 op_sel_hi:[1,0,1]
	ds_read2_b64 v[34:37], v22 offset0:128 offset1:160
	ds_read2_b64 v[44:47], v22 offset0:192 offset1:224
	s_waitcnt lgkmcnt(1)
	v_pk_fma_f16 v38, v34, v48, v38 op_sel:[0,1,0]
	v_pk_fma_f16 v33, v35, v48, v33 op_sel:[0,1,0]
	v_pk_fma_f16 v39, v36, v48, v39 op_sel:[0,1,0]
	v_pk_fma_f16 v54, v37, v48, v54 op_sel:[0,1,0]
	s_waitcnt lgkmcnt(0)
	v_pk_fma_f16 v55, v44, v48, v55 op_sel:[0,1,0]
	v_pk_fma_f16 v52, v45, v48, v52 op_sel:[0,1,0]
	v_pk_fma_f16 v53, v46, v48, v53 op_sel:[0,1,0]
	v_pk_fma_f16 v48, v47, v48, v56 op_sel:[0,1,0]
	ds_read2_b64 v[34:37], v30 offset1:32
	ds_read2_b64 v[44:47], v30 offset0:64 offset1:96
	s_waitcnt lgkmcnt(1)
	v_pk_fma_f16 v38, v34, v49, v38 op_sel_hi:[1,0,1]
	v_pk_fma_f16 v33, v35, v49, v33 op_sel_hi:[1,0,1]
	v_pk_fma_f16 v39, v36, v49, v39 op_sel_hi:[1,0,1]
	v_pk_fma_f16 v54, v37, v49, v54 op_sel_hi:[1,0,1]
	s_waitcnt lgkmcnt(0)
	v_pk_fma_f16 v55, v44, v49, v55 op_sel_hi:[1,0,1]
	v_pk_fma_f16 v52, v45, v49, v52 op_sel_hi:[1,0,1]
	v_pk_fma_f16 v53, v46, v49, v53 op_sel_hi:[1,0,1]
	v_pk_fma_f16 v48, v47, v49, v48 op_sel_hi:[1,0,1]
	ds_read2_b64 v[34:37], v30 offset0:128 offset1:160
	ds_read2_b64 v[44:47], v30 offset0:192 offset1:224
	s_waitcnt lgkmcnt(1)
	v_pk_fma_f16 v38, v34, v49, v38 op_sel:[0,1,0]
	v_pk_fma_f16 v33, v35, v49, v33 op_sel:[0,1,0]
	v_pk_fma_f16 v39, v36, v49, v39 op_sel:[0,1,0]
	v_pk_fma_f16 v54, v37, v49, v54 op_sel:[0,1,0]
	s_waitcnt lgkmcnt(0)
	v_pk_fma_f16 v55, v44, v49, v55 op_sel:[0,1,0]
	v_pk_fma_f16 v52, v45, v49, v52 op_sel:[0,1,0]
	v_pk_fma_f16 v53, v46, v49, v53 op_sel:[0,1,0]
	v_pk_fma_f16 v48, v47, v49, v48 op_sel:[0,1,0]
	ds_read2_b64 v[34:37], v31 offset1:32
	ds_read2_b64 v[44:47], v31 offset0:64 offset1:96
	s_waitcnt lgkmcnt(1)
	v_pk_fma_f16 v38, v34, v50, v38 op_sel_hi:[1,0,1]
	v_pk_fma_f16 v33, v35, v50, v33 op_sel_hi:[1,0,1]
	v_pk_fma_f16 v39, v36, v50, v39 op_sel_hi:[1,0,1]
	v_pk_fma_f16 v49, v37, v50, v54 op_sel_hi:[1,0,1]
	s_waitcnt lgkmcnt(0)
	v_pk_fma_f16 v54, v44, v50, v55 op_sel_hi:[1,0,1]
	v_pk_fma_f16 v52, v45, v50, v52 op_sel_hi:[1,0,1]
	v_pk_fma_f16 v53, v46, v50, v53 op_sel_hi:[1,0,1]
	v_pk_fma_f16 v48, v47, v50, v48 op_sel_hi:[1,0,1]
	;; [unrolled: 24-line block ×3, first 2 shown]
	ds_read2_b64 v[34:37], v32 offset0:128 offset1:160
	ds_read2_b64 v[44:47], v32 offset0:192 offset1:224
	s_waitcnt lgkmcnt(0)
	s_barrier
	v_pk_fma_f16 v54, v34, v51, v38 op_sel:[0,1,0]
	v_add_co_u32_e32 v38, vcc, s8, v23
	v_mov_b32_e32 v34, s9
	v_pk_fma_f16 v55, v36, v51, v39 op_sel:[0,1,0]
	v_addc_co_u32_e32 v39, vcc, v24, v34, vcc
	v_pk_fma_f16 v33, v35, v51, v33 op_sel:[0,1,0]
	v_pk_fma_f16 v56, v37, v51, v49 op_sel:[0,1,0]
	global_load_dwordx4 v[34:37], v[38:39], off
	v_pk_fma_f16 v57, v44, v51, v50 op_sel:[0,1,0]
	v_pk_fma_f16 v52, v45, v51, v52 op_sel:[0,1,0]
	;; [unrolled: 1-line block ×4, first 2 shown]
	s_or_b32 s8, s6, 32
	s_mul_hi_i32 s9, s8, s15
	s_mul_i32 s8, s8, s15
	s_lshl_b64 s[8:9], s[8:9], 2
	s_waitcnt vmcnt(0)
	ds_write_b128 v20, v[34:37]
	global_load_dwordx4 v[34:37], v[38:39], off offset:512
	s_waitcnt vmcnt(0)
	ds_write_b128 v21, v[34:37]
	s_waitcnt lgkmcnt(0)
	s_barrier
	ds_read2_b64 v[34:37], v22 offset1:32
	ds_read2_b64 v[44:47], v22 offset0:64 offset1:96
	ds_read_b128 v[48:51], v18 offset:48
	s_waitcnt lgkmcnt(0)
	v_pk_fma_f16 v38, v34, v48, v54 op_sel_hi:[1,0,1]
	v_pk_fma_f16 v33, v35, v48, v33 op_sel_hi:[1,0,1]
	;; [unrolled: 1-line block ×8, first 2 shown]
	ds_read2_b64 v[34:37], v22 offset0:128 offset1:160
	ds_read2_b64 v[44:47], v22 offset0:192 offset1:224
	s_waitcnt lgkmcnt(1)
	v_pk_fma_f16 v38, v34, v48, v38 op_sel:[0,1,0]
	v_pk_fma_f16 v33, v35, v48, v33 op_sel:[0,1,0]
	v_pk_fma_f16 v39, v36, v48, v39 op_sel:[0,1,0]
	v_pk_fma_f16 v54, v37, v48, v54 op_sel:[0,1,0]
	s_waitcnt lgkmcnt(0)
	v_pk_fma_f16 v55, v44, v48, v55 op_sel:[0,1,0]
	v_pk_fma_f16 v52, v45, v48, v52 op_sel:[0,1,0]
	v_pk_fma_f16 v53, v46, v48, v53 op_sel:[0,1,0]
	v_pk_fma_f16 v48, v47, v48, v56 op_sel:[0,1,0]
	ds_read2_b64 v[34:37], v30 offset1:32
	ds_read2_b64 v[44:47], v30 offset0:64 offset1:96
	s_waitcnt lgkmcnt(1)
	v_pk_fma_f16 v38, v34, v49, v38 op_sel_hi:[1,0,1]
	v_pk_fma_f16 v33, v35, v49, v33 op_sel_hi:[1,0,1]
	v_pk_fma_f16 v39, v36, v49, v39 op_sel_hi:[1,0,1]
	v_pk_fma_f16 v54, v37, v49, v54 op_sel_hi:[1,0,1]
	s_waitcnt lgkmcnt(0)
	v_pk_fma_f16 v55, v44, v49, v55 op_sel_hi:[1,0,1]
	v_pk_fma_f16 v52, v45, v49, v52 op_sel_hi:[1,0,1]
	v_pk_fma_f16 v53, v46, v49, v53 op_sel_hi:[1,0,1]
	v_pk_fma_f16 v48, v47, v49, v48 op_sel_hi:[1,0,1]
	ds_read2_b64 v[34:37], v30 offset0:128 offset1:160
	ds_read2_b64 v[44:47], v30 offset0:192 offset1:224
	s_waitcnt lgkmcnt(1)
	v_pk_fma_f16 v38, v34, v49, v38 op_sel:[0,1,0]
	v_pk_fma_f16 v33, v35, v49, v33 op_sel:[0,1,0]
	v_pk_fma_f16 v39, v36, v49, v39 op_sel:[0,1,0]
	v_pk_fma_f16 v54, v37, v49, v54 op_sel:[0,1,0]
	s_waitcnt lgkmcnt(0)
	v_pk_fma_f16 v55, v44, v49, v55 op_sel:[0,1,0]
	v_pk_fma_f16 v52, v45, v49, v52 op_sel:[0,1,0]
	v_pk_fma_f16 v53, v46, v49, v53 op_sel:[0,1,0]
	v_pk_fma_f16 v48, v47, v49, v48 op_sel:[0,1,0]
	ds_read2_b64 v[34:37], v31 offset1:32
	ds_read2_b64 v[44:47], v31 offset0:64 offset1:96
	s_waitcnt lgkmcnt(1)
	v_pk_fma_f16 v38, v34, v50, v38 op_sel_hi:[1,0,1]
	v_pk_fma_f16 v33, v35, v50, v33 op_sel_hi:[1,0,1]
	v_pk_fma_f16 v39, v36, v50, v39 op_sel_hi:[1,0,1]
	v_pk_fma_f16 v49, v37, v50, v54 op_sel_hi:[1,0,1]
	s_waitcnt lgkmcnt(0)
	v_pk_fma_f16 v54, v44, v50, v55 op_sel_hi:[1,0,1]
	v_pk_fma_f16 v52, v45, v50, v52 op_sel_hi:[1,0,1]
	v_pk_fma_f16 v53, v46, v50, v53 op_sel_hi:[1,0,1]
	v_pk_fma_f16 v48, v47, v50, v48 op_sel_hi:[1,0,1]
	;; [unrolled: 24-line block ×3, first 2 shown]
	ds_read2_b64 v[34:37], v32 offset0:128 offset1:160
	ds_read2_b64 v[44:47], v32 offset0:192 offset1:224
	s_waitcnt lgkmcnt(0)
	s_barrier
	v_pk_fma_f16 v54, v34, v51, v38 op_sel:[0,1,0]
	v_add_co_u32_e32 v38, vcc, s8, v23
	v_mov_b32_e32 v34, s9
	v_pk_fma_f16 v55, v36, v51, v39 op_sel:[0,1,0]
	v_addc_co_u32_e32 v39, vcc, v24, v34, vcc
	v_pk_fma_f16 v33, v35, v51, v33 op_sel:[0,1,0]
	v_pk_fma_f16 v56, v37, v51, v49 op_sel:[0,1,0]
	global_load_dwordx4 v[34:37], v[38:39], off
	v_pk_fma_f16 v57, v44, v51, v50 op_sel:[0,1,0]
	v_pk_fma_f16 v52, v45, v51, v52 op_sel:[0,1,0]
	;; [unrolled: 1-line block ×4, first 2 shown]
	s_or_b32 s8, s6, 40
	s_mul_hi_i32 s9, s8, s15
	s_mul_i32 s8, s8, s15
	s_lshl_b64 s[8:9], s[8:9], 2
	s_waitcnt vmcnt(0)
	ds_write_b128 v20, v[34:37]
	global_load_dwordx4 v[34:37], v[38:39], off offset:512
	s_waitcnt vmcnt(0)
	ds_write_b128 v21, v[34:37]
	s_waitcnt lgkmcnt(0)
	s_barrier
	ds_read2_b64 v[34:37], v22 offset1:32
	ds_read2_b64 v[44:47], v22 offset0:64 offset1:96
	ds_read_b128 v[48:51], v18 offset:64
	s_waitcnt lgkmcnt(0)
	v_pk_fma_f16 v38, v34, v48, v54 op_sel_hi:[1,0,1]
	v_pk_fma_f16 v33, v35, v48, v33 op_sel_hi:[1,0,1]
	;; [unrolled: 1-line block ×8, first 2 shown]
	ds_read2_b64 v[34:37], v22 offset0:128 offset1:160
	ds_read2_b64 v[44:47], v22 offset0:192 offset1:224
	s_waitcnt lgkmcnt(1)
	v_pk_fma_f16 v38, v34, v48, v38 op_sel:[0,1,0]
	v_pk_fma_f16 v33, v35, v48, v33 op_sel:[0,1,0]
	v_pk_fma_f16 v39, v36, v48, v39 op_sel:[0,1,0]
	v_pk_fma_f16 v54, v37, v48, v54 op_sel:[0,1,0]
	s_waitcnt lgkmcnt(0)
	v_pk_fma_f16 v55, v44, v48, v55 op_sel:[0,1,0]
	v_pk_fma_f16 v52, v45, v48, v52 op_sel:[0,1,0]
	v_pk_fma_f16 v53, v46, v48, v53 op_sel:[0,1,0]
	v_pk_fma_f16 v48, v47, v48, v56 op_sel:[0,1,0]
	ds_read2_b64 v[34:37], v30 offset1:32
	ds_read2_b64 v[44:47], v30 offset0:64 offset1:96
	s_waitcnt lgkmcnt(1)
	v_pk_fma_f16 v38, v34, v49, v38 op_sel_hi:[1,0,1]
	v_pk_fma_f16 v33, v35, v49, v33 op_sel_hi:[1,0,1]
	v_pk_fma_f16 v39, v36, v49, v39 op_sel_hi:[1,0,1]
	v_pk_fma_f16 v54, v37, v49, v54 op_sel_hi:[1,0,1]
	s_waitcnt lgkmcnt(0)
	v_pk_fma_f16 v55, v44, v49, v55 op_sel_hi:[1,0,1]
	v_pk_fma_f16 v52, v45, v49, v52 op_sel_hi:[1,0,1]
	v_pk_fma_f16 v53, v46, v49, v53 op_sel_hi:[1,0,1]
	v_pk_fma_f16 v48, v47, v49, v48 op_sel_hi:[1,0,1]
	ds_read2_b64 v[34:37], v30 offset0:128 offset1:160
	ds_read2_b64 v[44:47], v30 offset0:192 offset1:224
	s_waitcnt lgkmcnt(1)
	v_pk_fma_f16 v38, v34, v49, v38 op_sel:[0,1,0]
	v_pk_fma_f16 v33, v35, v49, v33 op_sel:[0,1,0]
	v_pk_fma_f16 v39, v36, v49, v39 op_sel:[0,1,0]
	v_pk_fma_f16 v54, v37, v49, v54 op_sel:[0,1,0]
	s_waitcnt lgkmcnt(0)
	v_pk_fma_f16 v55, v44, v49, v55 op_sel:[0,1,0]
	v_pk_fma_f16 v52, v45, v49, v52 op_sel:[0,1,0]
	v_pk_fma_f16 v53, v46, v49, v53 op_sel:[0,1,0]
	v_pk_fma_f16 v48, v47, v49, v48 op_sel:[0,1,0]
	ds_read2_b64 v[34:37], v31 offset1:32
	ds_read2_b64 v[44:47], v31 offset0:64 offset1:96
	s_waitcnt lgkmcnt(1)
	v_pk_fma_f16 v38, v34, v50, v38 op_sel_hi:[1,0,1]
	v_pk_fma_f16 v33, v35, v50, v33 op_sel_hi:[1,0,1]
	v_pk_fma_f16 v39, v36, v50, v39 op_sel_hi:[1,0,1]
	v_pk_fma_f16 v49, v37, v50, v54 op_sel_hi:[1,0,1]
	s_waitcnt lgkmcnt(0)
	v_pk_fma_f16 v54, v44, v50, v55 op_sel_hi:[1,0,1]
	v_pk_fma_f16 v52, v45, v50, v52 op_sel_hi:[1,0,1]
	v_pk_fma_f16 v53, v46, v50, v53 op_sel_hi:[1,0,1]
	v_pk_fma_f16 v48, v47, v50, v48 op_sel_hi:[1,0,1]
	;; [unrolled: 24-line block ×3, first 2 shown]
	ds_read2_b64 v[34:37], v32 offset0:128 offset1:160
	ds_read2_b64 v[44:47], v32 offset0:192 offset1:224
	s_waitcnt lgkmcnt(0)
	s_barrier
	v_pk_fma_f16 v54, v34, v51, v38 op_sel:[0,1,0]
	v_add_co_u32_e32 v38, vcc, s8, v23
	v_mov_b32_e32 v34, s9
	v_pk_fma_f16 v55, v36, v51, v39 op_sel:[0,1,0]
	v_addc_co_u32_e32 v39, vcc, v24, v34, vcc
	v_pk_fma_f16 v33, v35, v51, v33 op_sel:[0,1,0]
	v_pk_fma_f16 v56, v37, v51, v49 op_sel:[0,1,0]
	global_load_dwordx4 v[34:37], v[38:39], off
	v_pk_fma_f16 v57, v44, v51, v50 op_sel:[0,1,0]
	v_pk_fma_f16 v52, v45, v51, v52 op_sel:[0,1,0]
	;; [unrolled: 1-line block ×4, first 2 shown]
	s_or_b32 s8, s6, 48
	s_mul_hi_i32 s9, s8, s15
	s_mul_i32 s8, s8, s15
	s_lshl_b64 s[8:9], s[8:9], 2
	s_waitcnt vmcnt(0)
	ds_write_b128 v20, v[34:37]
	global_load_dwordx4 v[34:37], v[38:39], off offset:512
	s_waitcnt vmcnt(0)
	ds_write_b128 v21, v[34:37]
	s_waitcnt lgkmcnt(0)
	s_barrier
	ds_read2_b64 v[34:37], v22 offset1:32
	ds_read2_b64 v[44:47], v22 offset0:64 offset1:96
	ds_read_b128 v[48:51], v18 offset:80
	s_waitcnt lgkmcnt(0)
	v_pk_fma_f16 v38, v34, v48, v54 op_sel_hi:[1,0,1]
	v_pk_fma_f16 v33, v35, v48, v33 op_sel_hi:[1,0,1]
	;; [unrolled: 1-line block ×8, first 2 shown]
	ds_read2_b64 v[34:37], v22 offset0:128 offset1:160
	ds_read2_b64 v[44:47], v22 offset0:192 offset1:224
	s_waitcnt lgkmcnt(1)
	v_pk_fma_f16 v38, v34, v48, v38 op_sel:[0,1,0]
	v_pk_fma_f16 v33, v35, v48, v33 op_sel:[0,1,0]
	v_pk_fma_f16 v39, v36, v48, v39 op_sel:[0,1,0]
	v_pk_fma_f16 v54, v37, v48, v54 op_sel:[0,1,0]
	s_waitcnt lgkmcnt(0)
	v_pk_fma_f16 v55, v44, v48, v55 op_sel:[0,1,0]
	v_pk_fma_f16 v52, v45, v48, v52 op_sel:[0,1,0]
	v_pk_fma_f16 v53, v46, v48, v53 op_sel:[0,1,0]
	v_pk_fma_f16 v48, v47, v48, v56 op_sel:[0,1,0]
	ds_read2_b64 v[34:37], v30 offset1:32
	ds_read2_b64 v[44:47], v30 offset0:64 offset1:96
	s_waitcnt lgkmcnt(1)
	v_pk_fma_f16 v38, v34, v49, v38 op_sel_hi:[1,0,1]
	v_pk_fma_f16 v33, v35, v49, v33 op_sel_hi:[1,0,1]
	v_pk_fma_f16 v39, v36, v49, v39 op_sel_hi:[1,0,1]
	v_pk_fma_f16 v54, v37, v49, v54 op_sel_hi:[1,0,1]
	s_waitcnt lgkmcnt(0)
	v_pk_fma_f16 v55, v44, v49, v55 op_sel_hi:[1,0,1]
	v_pk_fma_f16 v52, v45, v49, v52 op_sel_hi:[1,0,1]
	v_pk_fma_f16 v53, v46, v49, v53 op_sel_hi:[1,0,1]
	v_pk_fma_f16 v48, v47, v49, v48 op_sel_hi:[1,0,1]
	ds_read2_b64 v[34:37], v30 offset0:128 offset1:160
	ds_read2_b64 v[44:47], v30 offset0:192 offset1:224
	s_waitcnt lgkmcnt(1)
	v_pk_fma_f16 v38, v34, v49, v38 op_sel:[0,1,0]
	v_pk_fma_f16 v33, v35, v49, v33 op_sel:[0,1,0]
	v_pk_fma_f16 v39, v36, v49, v39 op_sel:[0,1,0]
	v_pk_fma_f16 v54, v37, v49, v54 op_sel:[0,1,0]
	s_waitcnt lgkmcnt(0)
	v_pk_fma_f16 v55, v44, v49, v55 op_sel:[0,1,0]
	v_pk_fma_f16 v52, v45, v49, v52 op_sel:[0,1,0]
	v_pk_fma_f16 v53, v46, v49, v53 op_sel:[0,1,0]
	v_pk_fma_f16 v48, v47, v49, v48 op_sel:[0,1,0]
	ds_read2_b64 v[34:37], v31 offset1:32
	ds_read2_b64 v[44:47], v31 offset0:64 offset1:96
	s_waitcnt lgkmcnt(1)
	v_pk_fma_f16 v38, v34, v50, v38 op_sel_hi:[1,0,1]
	v_pk_fma_f16 v33, v35, v50, v33 op_sel_hi:[1,0,1]
	v_pk_fma_f16 v39, v36, v50, v39 op_sel_hi:[1,0,1]
	v_pk_fma_f16 v49, v37, v50, v54 op_sel_hi:[1,0,1]
	s_waitcnt lgkmcnt(0)
	v_pk_fma_f16 v54, v44, v50, v55 op_sel_hi:[1,0,1]
	v_pk_fma_f16 v52, v45, v50, v52 op_sel_hi:[1,0,1]
	v_pk_fma_f16 v53, v46, v50, v53 op_sel_hi:[1,0,1]
	v_pk_fma_f16 v48, v47, v50, v48 op_sel_hi:[1,0,1]
	;; [unrolled: 24-line block ×3, first 2 shown]
	ds_read2_b64 v[34:37], v32 offset0:128 offset1:160
	ds_read2_b64 v[44:47], v32 offset0:192 offset1:224
	s_waitcnt lgkmcnt(0)
	s_barrier
	v_pk_fma_f16 v54, v34, v51, v38 op_sel:[0,1,0]
	v_add_co_u32_e32 v38, vcc, s8, v23
	v_mov_b32_e32 v34, s9
	v_pk_fma_f16 v55, v36, v51, v39 op_sel:[0,1,0]
	v_addc_co_u32_e32 v39, vcc, v24, v34, vcc
	v_pk_fma_f16 v33, v35, v51, v33 op_sel:[0,1,0]
	v_pk_fma_f16 v56, v37, v51, v49 op_sel:[0,1,0]
	global_load_dwordx4 v[34:37], v[38:39], off
	v_pk_fma_f16 v57, v44, v51, v50 op_sel:[0,1,0]
	v_pk_fma_f16 v52, v45, v51, v52 op_sel:[0,1,0]
	;; [unrolled: 1-line block ×4, first 2 shown]
	s_or_b32 s8, s6, 56
	s_mul_hi_i32 s9, s8, s15
	s_mul_i32 s8, s8, s15
	s_lshl_b64 s[8:9], s[8:9], 2
	s_waitcnt vmcnt(0)
	ds_write_b128 v20, v[34:37]
	global_load_dwordx4 v[34:37], v[38:39], off offset:512
	s_waitcnt vmcnt(0)
	ds_write_b128 v21, v[34:37]
	s_waitcnt lgkmcnt(0)
	s_barrier
	ds_read2_b64 v[34:37], v22 offset1:32
	ds_read2_b64 v[44:47], v22 offset0:64 offset1:96
	ds_read_b128 v[48:51], v18 offset:96
	s_waitcnt lgkmcnt(0)
	v_pk_fma_f16 v38, v34, v48, v54 op_sel_hi:[1,0,1]
	v_pk_fma_f16 v33, v35, v48, v33 op_sel_hi:[1,0,1]
	;; [unrolled: 1-line block ×8, first 2 shown]
	ds_read2_b64 v[34:37], v22 offset0:128 offset1:160
	ds_read2_b64 v[44:47], v22 offset0:192 offset1:224
	s_waitcnt lgkmcnt(1)
	v_pk_fma_f16 v38, v34, v48, v38 op_sel:[0,1,0]
	v_pk_fma_f16 v33, v35, v48, v33 op_sel:[0,1,0]
	v_pk_fma_f16 v39, v36, v48, v39 op_sel:[0,1,0]
	v_pk_fma_f16 v54, v37, v48, v54 op_sel:[0,1,0]
	s_waitcnt lgkmcnt(0)
	v_pk_fma_f16 v55, v44, v48, v55 op_sel:[0,1,0]
	v_pk_fma_f16 v52, v45, v48, v52 op_sel:[0,1,0]
	v_pk_fma_f16 v53, v46, v48, v53 op_sel:[0,1,0]
	v_pk_fma_f16 v48, v47, v48, v56 op_sel:[0,1,0]
	ds_read2_b64 v[34:37], v30 offset1:32
	ds_read2_b64 v[44:47], v30 offset0:64 offset1:96
	s_waitcnt lgkmcnt(1)
	v_pk_fma_f16 v38, v34, v49, v38 op_sel_hi:[1,0,1]
	v_pk_fma_f16 v33, v35, v49, v33 op_sel_hi:[1,0,1]
	v_pk_fma_f16 v39, v36, v49, v39 op_sel_hi:[1,0,1]
	v_pk_fma_f16 v54, v37, v49, v54 op_sel_hi:[1,0,1]
	s_waitcnt lgkmcnt(0)
	v_pk_fma_f16 v55, v44, v49, v55 op_sel_hi:[1,0,1]
	v_pk_fma_f16 v52, v45, v49, v52 op_sel_hi:[1,0,1]
	v_pk_fma_f16 v53, v46, v49, v53 op_sel_hi:[1,0,1]
	v_pk_fma_f16 v48, v47, v49, v48 op_sel_hi:[1,0,1]
	ds_read2_b64 v[34:37], v30 offset0:128 offset1:160
	ds_read2_b64 v[44:47], v30 offset0:192 offset1:224
	s_waitcnt lgkmcnt(1)
	v_pk_fma_f16 v38, v34, v49, v38 op_sel:[0,1,0]
	v_pk_fma_f16 v33, v35, v49, v33 op_sel:[0,1,0]
	v_pk_fma_f16 v39, v36, v49, v39 op_sel:[0,1,0]
	v_pk_fma_f16 v54, v37, v49, v54 op_sel:[0,1,0]
	s_waitcnt lgkmcnt(0)
	v_pk_fma_f16 v55, v44, v49, v55 op_sel:[0,1,0]
	v_pk_fma_f16 v52, v45, v49, v52 op_sel:[0,1,0]
	v_pk_fma_f16 v53, v46, v49, v53 op_sel:[0,1,0]
	v_pk_fma_f16 v48, v47, v49, v48 op_sel:[0,1,0]
	ds_read2_b64 v[34:37], v31 offset1:32
	ds_read2_b64 v[44:47], v31 offset0:64 offset1:96
	s_waitcnt lgkmcnt(1)
	v_pk_fma_f16 v38, v34, v50, v38 op_sel_hi:[1,0,1]
	v_pk_fma_f16 v33, v35, v50, v33 op_sel_hi:[1,0,1]
	v_pk_fma_f16 v39, v36, v50, v39 op_sel_hi:[1,0,1]
	v_pk_fma_f16 v49, v37, v50, v54 op_sel_hi:[1,0,1]
	s_waitcnt lgkmcnt(0)
	v_pk_fma_f16 v54, v44, v50, v55 op_sel_hi:[1,0,1]
	v_pk_fma_f16 v52, v45, v50, v52 op_sel_hi:[1,0,1]
	v_pk_fma_f16 v53, v46, v50, v53 op_sel_hi:[1,0,1]
	v_pk_fma_f16 v48, v47, v50, v48 op_sel_hi:[1,0,1]
	;; [unrolled: 24-line block ×3, first 2 shown]
	ds_read2_b64 v[34:37], v32 offset0:128 offset1:160
	ds_read2_b64 v[44:47], v32 offset0:192 offset1:224
	s_waitcnt lgkmcnt(0)
	s_barrier
	v_pk_fma_f16 v54, v34, v51, v38 op_sel:[0,1,0]
	v_add_co_u32_e32 v38, vcc, s8, v23
	v_mov_b32_e32 v34, s9
	v_pk_fma_f16 v55, v36, v51, v39 op_sel:[0,1,0]
	v_addc_co_u32_e32 v39, vcc, v24, v34, vcc
	v_pk_fma_f16 v33, v35, v51, v33 op_sel:[0,1,0]
	v_pk_fma_f16 v56, v37, v51, v49 op_sel:[0,1,0]
	global_load_dwordx4 v[34:37], v[38:39], off
	v_pk_fma_f16 v57, v44, v51, v50 op_sel:[0,1,0]
	v_pk_fma_f16 v52, v45, v51, v52 op_sel:[0,1,0]
	;; [unrolled: 1-line block ×4, first 2 shown]
	s_waitcnt vmcnt(0)
	ds_write_b128 v20, v[34:37]
	global_load_dwordx4 v[34:37], v[38:39], off offset:512
	s_waitcnt vmcnt(0)
	ds_write_b128 v21, v[34:37]
	s_waitcnt lgkmcnt(0)
	s_barrier
	ds_read2_b64 v[34:37], v22 offset1:32
	ds_read2_b64 v[44:47], v22 offset0:64 offset1:96
	ds_read_b128 v[48:51], v18 offset:112
	s_waitcnt lgkmcnt(0)
	v_pk_fma_f16 v38, v34, v48, v54 op_sel_hi:[1,0,1]
	v_pk_fma_f16 v33, v35, v48, v33 op_sel_hi:[1,0,1]
	;; [unrolled: 1-line block ×8, first 2 shown]
	ds_read2_b64 v[34:37], v22 offset0:128 offset1:160
	ds_read2_b64 v[44:47], v22 offset0:192 offset1:224
	s_waitcnt lgkmcnt(1)
	v_pk_fma_f16 v38, v34, v48, v38 op_sel:[0,1,0]
	v_pk_fma_f16 v33, v35, v48, v33 op_sel:[0,1,0]
	v_pk_fma_f16 v39, v36, v48, v39 op_sel:[0,1,0]
	v_pk_fma_f16 v54, v37, v48, v54 op_sel:[0,1,0]
	s_waitcnt lgkmcnt(0)
	v_pk_fma_f16 v55, v44, v48, v55 op_sel:[0,1,0]
	v_pk_fma_f16 v52, v45, v48, v52 op_sel:[0,1,0]
	v_pk_fma_f16 v53, v46, v48, v53 op_sel:[0,1,0]
	v_pk_fma_f16 v48, v47, v48, v56 op_sel:[0,1,0]
	ds_read2_b64 v[34:37], v30 offset1:32
	ds_read2_b64 v[44:47], v30 offset0:64 offset1:96
	s_waitcnt lgkmcnt(1)
	v_pk_fma_f16 v38, v34, v49, v38 op_sel_hi:[1,0,1]
	v_pk_fma_f16 v33, v35, v49, v33 op_sel_hi:[1,0,1]
	v_pk_fma_f16 v39, v36, v49, v39 op_sel_hi:[1,0,1]
	v_pk_fma_f16 v54, v37, v49, v54 op_sel_hi:[1,0,1]
	s_waitcnt lgkmcnt(0)
	v_pk_fma_f16 v55, v44, v49, v55 op_sel_hi:[1,0,1]
	v_pk_fma_f16 v52, v45, v49, v52 op_sel_hi:[1,0,1]
	v_pk_fma_f16 v53, v46, v49, v53 op_sel_hi:[1,0,1]
	v_pk_fma_f16 v48, v47, v49, v48 op_sel_hi:[1,0,1]
	ds_read2_b64 v[34:37], v30 offset0:128 offset1:160
	ds_read2_b64 v[44:47], v30 offset0:192 offset1:224
	s_waitcnt lgkmcnt(1)
	v_pk_fma_f16 v30, v34, v49, v38 op_sel:[0,1,0]
	v_pk_fma_f16 v33, v35, v49, v33 op_sel:[0,1,0]
	v_pk_fma_f16 v38, v36, v49, v39 op_sel:[0,1,0]
	v_pk_fma_f16 v39, v37, v49, v54 op_sel:[0,1,0]
	s_waitcnt lgkmcnt(0)
	v_pk_fma_f16 v54, v44, v49, v55 op_sel:[0,1,0]
	v_pk_fma_f16 v52, v45, v49, v52 op_sel:[0,1,0]
	v_pk_fma_f16 v53, v46, v49, v53 op_sel:[0,1,0]
	v_pk_fma_f16 v48, v47, v49, v48 op_sel:[0,1,0]
	ds_read2_b64 v[34:37], v31 offset1:32
	ds_read2_b64 v[44:47], v31 offset0:64 offset1:96
	s_waitcnt lgkmcnt(1)
	v_pk_fma_f16 v30, v34, v50, v30 op_sel_hi:[1,0,1]
	v_pk_fma_f16 v33, v35, v50, v33 op_sel_hi:[1,0,1]
	v_pk_fma_f16 v38, v36, v50, v38 op_sel_hi:[1,0,1]
	v_pk_fma_f16 v39, v37, v50, v39 op_sel_hi:[1,0,1]
	s_waitcnt lgkmcnt(0)
	v_pk_fma_f16 v49, v44, v50, v54 op_sel_hi:[1,0,1]
	v_pk_fma_f16 v52, v45, v50, v52 op_sel_hi:[1,0,1]
	v_pk_fma_f16 v53, v46, v50, v53 op_sel_hi:[1,0,1]
	v_pk_fma_f16 v48, v47, v50, v48 op_sel_hi:[1,0,1]
	;; [unrolled: 24-line block ×3, first 2 shown]
	ds_read2_b64 v[36:39], v32 offset0:128 offset1:160
	ds_read2_b64 v[44:47], v32 offset0:192 offset1:224
	s_waitcnt lgkmcnt(0)
	s_barrier
	s_load_dword s8, s[0:1], 0x4
	v_pk_fma_f16 v32, v36, v51, v30 op_sel:[0,1,0]
	v_pk_fma_f16 v31, v37, v51, v31 op_sel:[0,1,0]
	;; [unrolled: 1-line block ×4, first 2 shown]
	s_waitcnt lgkmcnt(0)
	s_lshl_b32 s8, s8, 6
	s_add_i32 s6, s8, s6
	v_pk_fma_f16 v35, v44, v51, v35 op_sel:[0,1,0]
	v_pk_fma_f16 v34, v45, v51, v49 op_sel:[0,1,0]
	;; [unrolled: 1-line block ×4, first 2 shown]
	s_cmp_lt_i32 s6, s28
	s_cbranch_scc0 .LBB28_19
; %bb.18:                               ;   in Loop: Header=BB28_9 Depth=1
	v_mov_b32_e32 v39, v8
	v_mov_b32_e32 v38, v43
	s_branch .LBB28_9
.LBB28_19:
	v_cmp_lt_i32_e32 vcc, v10, v9
	v_cndmask_b32_e32 v2, v3, v10, vcc
	v_lshlrev_b32_e32 v2, 2, v2
	ds_bpermute_b32 v2, v2, v43
	v_cmp_lt_i32_e32 vcc, v11, v9
	v_cndmask_b32_e32 v4, v3, v11, vcc
	v_lshlrev_b32_e32 v4, 2, v4
	v_cmp_lt_i32_e32 vcc, v40, v9
	s_waitcnt lgkmcnt(0)
	v_add_f32_e32 v2, v43, v2
	ds_bpermute_b32 v4, v4, v2
	v_cndmask_b32_e32 v5, v3, v40, vcc
	v_lshlrev_b32_e32 v5, 2, v5
	v_cmp_lt_i32_e32 vcc, v41, v9
	s_cmp_eq_u64 s[16:17], 0
	s_waitcnt lgkmcnt(0)
	v_add_f32_e32 v2, v2, v4
	ds_bpermute_b32 v4, v5, v2
	v_cndmask_b32_e32 v5, v3, v41, vcc
	v_lshlrev_b32_e32 v5, 2, v5
	v_cmp_lt_i32_e32 vcc, v42, v9
	v_cndmask_b32_e32 v3, v3, v42, vcc
	s_waitcnt lgkmcnt(0)
	v_add_f32_e32 v4, v2, v4
	ds_bpermute_b32 v5, v5, v4
	v_lshlrev_b32_e32 v3, 2, v3
	s_cselect_b64 s[0:1], -1, 0
	s_cmp_lg_u32 s7, 0
	s_cselect_b64 s[8:9], -1, 0
	s_waitcnt lgkmcnt(0)
	v_add_f32_e32 v4, v4, v5
	ds_bpermute_b32 v3, v3, v4
	s_or_b64 s[0:1], s[8:9], s[0:1]
	v_add_u32_e32 v2, s29, v12
	s_and_b64 vcc, exec, s[0:1]
	s_waitcnt lgkmcnt(0)
	v_add_f32_e32 v9, v4, v3
	s_cbranch_vccnz .LBB28_21
; %bb.20:
	v_ashrrev_i32_e32 v3, 31, v2
	v_lshlrev_b64 v[4:5], 2, v[2:3]
	v_mov_b32_e32 v3, s17
	v_add_co_u32_e32 v4, vcc, s16, v4
	v_addc_co_u32_e32 v5, vcc, v3, v5, vcc
	global_load_dword v3, v[4:5], off
	v_max_f32_e32 v4, v8, v8
	s_mov_b32 s0, 0x3fb8aa3b
	s_mov_b32 s1, 0xc2ce8ed0
	s_waitcnt vmcnt(0)
	v_max_f32_e32 v5, v3, v3
	v_max_f32_e32 v4, v4, v5
	v_sub_f32_e32 v5, v8, v4
	v_sub_f32_e32 v3, v3, v4
	v_mul_f32_e32 v6, 0x3fb8aa3b, v5
	v_mul_f32_e32 v7, 0x3fb8aa3b, v3
	v_fma_f32 v8, v5, s0, -v6
	v_rndne_f32_e32 v10, v6
	v_fma_f32 v11, v3, s0, -v7
	v_rndne_f32_e32 v12, v7
	v_fmac_f32_e32 v8, 0x32a5705f, v5
	v_sub_f32_e32 v6, v6, v10
	v_fmac_f32_e32 v11, 0x32a5705f, v3
	v_sub_f32_e32 v7, v7, v12
	v_add_f32_e32 v6, v6, v8
	v_cvt_i32_f32_e32 v10, v10
	v_add_f32_e32 v7, v7, v11
	v_exp_f32_e32 v6, v6
	v_cvt_i32_f32_e32 v12, v12
	v_exp_f32_e32 v7, v7
	v_cmp_ngt_f32_e32 vcc, s1, v5
	v_ldexp_f32 v6, v6, v10
	s_mov_b32 s0, 0x42b17218
	v_ldexp_f32 v7, v7, v12
	v_cndmask_b32_e32 v6, 0, v6, vcc
	v_cmp_ngt_f32_e32 vcc, s1, v3
	v_mov_b32_e32 v8, 0x7f800000
	v_cndmask_b32_e32 v7, 0, v7, vcc
	v_cmp_nlt_f32_e32 vcc, s0, v5
	v_cndmask_b32_e32 v6, v8, v6, vcc
	v_cvt_f16_f32_e32 v10, v6
	v_cmp_nlt_f32_e32 vcc, s0, v3
	v_cndmask_b32_e32 v5, v8, v7, vcc
	v_fmac_f32_e32 v5, v9, v6
	v_pk_mul_f16 v32, v10, v32 op_sel_hi:[0,1]
	v_pk_mul_f16 v31, v10, v31 op_sel_hi:[0,1]
	;; [unrolled: 1-line block ×8, first 2 shown]
	v_pk_mov_b32 v[8:9], v[4:5], v[4:5] op_sel:[0,1]
	s_branch .LBB28_22
.LBB28_21:
	v_mov_b32_e32 v5, v9
.LBB28_22:
	v_div_scale_f32 v3, s[0:1], v5, v5, 1.0
	v_rcp_f32_e32 v4, v3
	s_load_dword s4, s[4:5], 0xd4
	s_mul_i32 s33, s33, s2
	v_add_u32_e32 v1, s33, v1
	v_fma_f32 v6, -v3, v4, 1.0
	v_fmac_f32_e32 v4, v6, v4
	v_div_scale_f32 v6, vcc, 1.0, v5, 1.0
	v_mul_f32_e32 v7, v6, v4
	v_fma_f32 v10, -v3, v7, v6
	v_fmac_f32_e32 v7, v10, v4
	v_fma_f32 v3, -v3, v7, v6
	s_waitcnt lgkmcnt(0)
	s_cmp_lg_u32 s4, 1
	v_div_fmas_f32 v3, v3, v4, v7
	v_div_fixup_f32 v3, v3, v5, 1.0
	s_cselect_b64 s[0:1], -1, 0
	v_cndmask_b32_e64 v10, v3, 1.0, s[0:1]
	v_mad_u64_u32 v[2:3], s[2:3], v1, s3, v[2:3]
	v_mul_lo_u32 v1, s4, v2
	v_add_u32_e32 v2, s7, v1
	v_cvt_f32_f16_sdwa v7, v32 dst_sel:DWORD dst_unused:UNUSED_PAD src0_sel:WORD_1
	v_cvt_f32_f16_e32 v6, v32
	v_cvt_f32_f16_sdwa v15, v31 dst_sel:DWORD dst_unused:UNUSED_PAD src0_sel:WORD_1
	v_cvt_f32_f16_e32 v14, v31
	v_lshl_add_u32 v12, v2, 9, v13
	v_mov_b32_e32 v13, 0
	v_lshlrev_b64 v[4:5], 2, v[12:13]
	v_mov_b32_e32 v1, s21
	v_add_co_u32_e32 v16, vcc, s20, v4
	v_addc_co_u32_e32 v17, vcc, v1, v5, vcc
	v_pk_mul_f32 v[4:5], v[10:11], v[6:7] op_sel_hi:[0,1]
	v_pk_mul_f32 v[6:7], v[10:11], v[14:15] op_sel_hi:[0,1]
	global_store_dwordx4 v[16:17], v[4:7], off
	v_cvt_f32_f16_sdwa v15, v36 dst_sel:DWORD dst_unused:UNUSED_PAD src0_sel:WORD_1
	v_cvt_f32_f16_sdwa v7, v37 dst_sel:DWORD dst_unused:UNUSED_PAD src0_sel:WORD_1
	v_cvt_f32_f16_e32 v6, v37
	v_cvt_f32_f16_e32 v14, v36
	v_add_u32_e32 v4, 0x80, v12
	v_mov_b32_e32 v5, v13
	v_lshlrev_b64 v[4:5], 2, v[4:5]
	v_add_co_u32_e32 v16, vcc, s20, v4
	v_addc_co_u32_e32 v17, vcc, v1, v5, vcc
	v_pk_mul_f32 v[4:5], v[10:11], v[6:7] op_sel_hi:[0,1]
	v_pk_mul_f32 v[6:7], v[10:11], v[14:15] op_sel_hi:[0,1]
	global_store_dwordx4 v[16:17], v[4:7], off
	v_cvt_f32_f16_sdwa v15, v34 dst_sel:DWORD dst_unused:UNUSED_PAD src0_sel:WORD_1
	v_cvt_f32_f16_sdwa v7, v35 dst_sel:DWORD dst_unused:UNUSED_PAD src0_sel:WORD_1
	v_cvt_f32_f16_e32 v6, v35
	v_cvt_f32_f16_e32 v14, v34
	v_add_u32_e32 v4, 0x100, v12
	v_mov_b32_e32 v5, v13
	v_lshlrev_b64 v[4:5], 2, v[4:5]
	v_add_co_u32_e32 v16, vcc, s20, v4
	v_addc_co_u32_e32 v17, vcc, v1, v5, vcc
	v_pk_mul_f32 v[4:5], v[10:11], v[6:7] op_sel_hi:[0,1]
	v_pk_mul_f32 v[6:7], v[10:11], v[14:15] op_sel_hi:[0,1]
	v_add_u32_e32 v12, 0x180, v12
	global_store_dwordx4 v[16:17], v[4:7], off
	s_nop 0
	v_lshlrev_b64 v[4:5], 2, v[12:13]
	v_cvt_f32_f16_sdwa v7, v33 dst_sel:DWORD dst_unused:UNUSED_PAD src0_sel:WORD_1
	v_cvt_f32_f16_e32 v6, v33
	v_cvt_f32_f16_sdwa v13, v30 dst_sel:DWORD dst_unused:UNUSED_PAD src0_sel:WORD_1
	v_cvt_f32_f16_e32 v12, v30
	v_add_co_u32_e32 v14, vcc, s20, v4
	v_addc_co_u32_e32 v15, vcc, v1, v5, vcc
	v_cmp_eq_u32_e32 vcc, 0, v0
	v_pk_mul_f32 v[4:5], v[10:11], v[6:7] op_sel_hi:[0,1]
	v_pk_mul_f32 v[6:7], v[10:11], v[12:13] op_sel_hi:[0,1]
	s_and_b64 s[0:1], vcc, s[0:1]
	global_store_dwordx4 v[14:15], v[4:7], off
	s_and_saveexec_b64 s[2:3], s[0:1]
	s_cbranch_execz .LBB28_24
; %bb.23:
	v_ashrrev_i32_e32 v3, 31, v2
	v_lshlrev_b64 v[0:1], 3, v[2:3]
	v_mov_b32_e32 v2, s23
	v_add_co_u32_e32 v0, vcc, s22, v0
	v_addc_co_u32_e32 v1, vcc, v2, v1, vcc
	global_store_dwordx2 v[0:1], v[8:9], off
.LBB28_24:
	s_endpgm
	.section	.rodata,"a",@progbits
	.p2align	6, 0x0
	.amdhsa_kernel _ZL15flash_attn_tileILi512ELi512ELi1ELi8ELb1EEvPKcS1_S1_S1_S1_PKiPfP15HIP_vector_typeIfLj2EEffffjfiS5_IjLj3EEiiiiiiiiiiiliiliiiiil
		.amdhsa_group_segment_fixed_size 18432
		.amdhsa_private_segment_fixed_size 0
		.amdhsa_kernarg_size 464
		.amdhsa_user_sgpr_count 6
		.amdhsa_user_sgpr_private_segment_buffer 1
		.amdhsa_user_sgpr_dispatch_ptr 0
		.amdhsa_user_sgpr_queue_ptr 0
		.amdhsa_user_sgpr_kernarg_segment_ptr 1
		.amdhsa_user_sgpr_dispatch_id 0
		.amdhsa_user_sgpr_flat_scratch_init 0
		.amdhsa_user_sgpr_kernarg_preload_length 0
		.amdhsa_user_sgpr_kernarg_preload_offset 0
		.amdhsa_user_sgpr_private_segment_size 0
		.amdhsa_uses_dynamic_stack 0
		.amdhsa_system_sgpr_private_segment_wavefront_offset 0
		.amdhsa_system_sgpr_workgroup_id_x 1
		.amdhsa_system_sgpr_workgroup_id_y 1
		.amdhsa_system_sgpr_workgroup_id_z 1
		.amdhsa_system_sgpr_workgroup_info 0
		.amdhsa_system_vgpr_workitem_id 1
		.amdhsa_next_free_vgpr 59
		.amdhsa_next_free_sgpr 44
		.amdhsa_accum_offset 60
		.amdhsa_reserve_vcc 1
		.amdhsa_reserve_flat_scratch 0
		.amdhsa_float_round_mode_32 0
		.amdhsa_float_round_mode_16_64 0
		.amdhsa_float_denorm_mode_32 3
		.amdhsa_float_denorm_mode_16_64 3
		.amdhsa_dx10_clamp 1
		.amdhsa_ieee_mode 1
		.amdhsa_fp16_overflow 0
		.amdhsa_tg_split 0
		.amdhsa_exception_fp_ieee_invalid_op 0
		.amdhsa_exception_fp_denorm_src 0
		.amdhsa_exception_fp_ieee_div_zero 0
		.amdhsa_exception_fp_ieee_overflow 0
		.amdhsa_exception_fp_ieee_underflow 0
		.amdhsa_exception_fp_ieee_inexact 0
		.amdhsa_exception_int_div_zero 0
	.end_amdhsa_kernel
	.section	.text._ZL15flash_attn_tileILi512ELi512ELi1ELi8ELb1EEvPKcS1_S1_S1_S1_PKiPfP15HIP_vector_typeIfLj2EEffffjfiS5_IjLj3EEiiiiiiiiiiiliiliiiiil,"axG",@progbits,_ZL15flash_attn_tileILi512ELi512ELi1ELi8ELb1EEvPKcS1_S1_S1_S1_PKiPfP15HIP_vector_typeIfLj2EEffffjfiS5_IjLj3EEiiiiiiiiiiiliiliiiiil,comdat
.Lfunc_end28:
	.size	_ZL15flash_attn_tileILi512ELi512ELi1ELi8ELb1EEvPKcS1_S1_S1_S1_PKiPfP15HIP_vector_typeIfLj2EEffffjfiS5_IjLj3EEiiiiiiiiiiiliiliiiiil, .Lfunc_end28-_ZL15flash_attn_tileILi512ELi512ELi1ELi8ELb1EEvPKcS1_S1_S1_S1_PKiPfP15HIP_vector_typeIfLj2EEffffjfiS5_IjLj3EEiiiiiiiiiiiliiliiiiil
                                        ; -- End function
	.section	.AMDGPU.csdata,"",@progbits
; Kernel info:
; codeLenInByte = 16636
; NumSgprs: 48
; NumVgprs: 59
; NumAgprs: 0
; TotalNumVgprs: 59
; ScratchSize: 0
; MemoryBound: 0
; FloatMode: 240
; IeeeMode: 1
; LDSByteSize: 18432 bytes/workgroup (compile time only)
; SGPRBlocks: 5
; VGPRBlocks: 7
; NumSGPRsForWavesPerEU: 48
; NumVGPRsForWavesPerEU: 59
; AccumOffset: 60
; Occupancy: 3
; WaveLimiterHint : 1
; COMPUTE_PGM_RSRC2:SCRATCH_EN: 0
; COMPUTE_PGM_RSRC2:USER_SGPR: 6
; COMPUTE_PGM_RSRC2:TRAP_HANDLER: 0
; COMPUTE_PGM_RSRC2:TGID_X_EN: 1
; COMPUTE_PGM_RSRC2:TGID_Y_EN: 1
; COMPUTE_PGM_RSRC2:TGID_Z_EN: 1
; COMPUTE_PGM_RSRC2:TIDIG_COMP_CNT: 1
; COMPUTE_PGM_RSRC3_GFX90A:ACCUM_OFFSET: 14
; COMPUTE_PGM_RSRC3_GFX90A:TG_SPLIT: 0
	.section	.text._ZL15flash_attn_tileILi512ELi512ELi8ELi4ELb1EEvPKcS1_S1_S1_S1_PKiPfP15HIP_vector_typeIfLj2EEffffjfiS5_IjLj3EEiiiiiiiiiiiliiliiiiil,"axG",@progbits,_ZL15flash_attn_tileILi512ELi512ELi8ELi4ELb1EEvPKcS1_S1_S1_S1_PKiPfP15HIP_vector_typeIfLj2EEffffjfiS5_IjLj3EEiiiiiiiiiiiliiliiiiil,comdat
	.globl	_ZL15flash_attn_tileILi512ELi512ELi8ELi4ELb1EEvPKcS1_S1_S1_S1_PKiPfP15HIP_vector_typeIfLj2EEffffjfiS5_IjLj3EEiiiiiiiiiiiliiliiiiil ; -- Begin function _ZL15flash_attn_tileILi512ELi512ELi8ELi4ELb1EEvPKcS1_S1_S1_S1_PKiPfP15HIP_vector_typeIfLj2EEffffjfiS5_IjLj3EEiiiiiiiiiiiliiliiiiil
	.p2align	8
	.type	_ZL15flash_attn_tileILi512ELi512ELi8ELi4ELb1EEvPKcS1_S1_S1_S1_PKiPfP15HIP_vector_typeIfLj2EEffffjfiS5_IjLj3EEiiiiiiiiiiiliiliiiiil,@function
_ZL15flash_attn_tileILi512ELi512ELi8ELi4ELb1EEvPKcS1_S1_S1_S1_PKiPfP15HIP_vector_typeIfLj2EEffffjfiS5_IjLj3EEiiiiiiiiiiiliiliiiiil: ; @_ZL15flash_attn_tileILi512ELi512ELi8ELi4ELb1EEvPKcS1_S1_S1_S1_PKiPfP15HIP_vector_typeIfLj2EEffffjfiS5_IjLj3EEiiiiiiiiiiiliiliiiiil
; %bb.0:
	s_load_dwordx4 s[0:3], s[4:5], 0x5c
	s_load_dwordx2 s[28:29], s[4:5], 0x80
	s_load_dwordx2 s[34:35], s[4:5], 0xb8
	s_mov_b64 s[30:31], 0
	s_waitcnt lgkmcnt(0)
	s_ashr_i32 s9, s3, 31
	s_lshr_b32 s9, s9, 30
	s_add_i32 s9, s3, s9
	s_ashr_i32 s9, s9, 2
	v_cvt_f32_u32_e32 v1, s9
	s_sub_i32 s10, 0, s9
	v_rcp_iflag_f32_e32 v1, v1
	v_mul_f32_e32 v1, 0x4f7ffffe, v1
	v_cvt_u32_f32_e32 v1, v1
	v_readfirstlane_b32 s11, v1
	s_mul_i32 s10, s10, s11
	s_mul_hi_u32 s10, s11, s10
	s_add_i32 s11, s11, s10
	s_mul_hi_u32 s10, s8, s11
	s_mul_i32 s11, s10, s9
	s_sub_i32 s11, s8, s11
	s_add_i32 s12, s10, 1
	s_sub_i32 s13, s11, s9
	s_cmp_ge_u32 s11, s9
	s_cselect_b32 s10, s12, s10
	s_cselect_b32 s11, s13, s11
	s_add_i32 s12, s10, 1
	s_cmp_ge_u32 s11, s9
	s_cselect_b32 s33, s12, s10
	s_abs_i32 s9, s29
	v_cvt_f32_u32_e32 v1, s9
	s_lshl_b32 s8, s8, 2
	s_mul_i32 s12, s33, s3
	s_xor_b32 s10, s3, s29
	v_rcp_iflag_f32_e32 v1, v1
	s_sub_i32 s13, 0, s9
	s_sub_i32 s29, s8, s12
	s_abs_i32 s11, s3
	v_mul_f32_e32 v1, 0x4f7ffffe, v1
	v_cvt_u32_f32_e32 v1, v1
	s_ashr_i32 s10, s10, 31
	v_readfirstlane_b32 s8, v1
	s_mul_i32 s13, s13, s8
	s_mul_hi_u32 s12, s8, s13
	s_add_i32 s8, s8, s12
	s_mul_hi_u32 s8, s11, s8
	s_mul_i32 s12, s8, s9
	s_sub_i32 s11, s11, s12
	s_add_i32 s13, s8, 1
	s_sub_i32 s12, s11, s9
	s_cmp_ge_u32 s11, s9
	s_cselect_b32 s8, s13, s8
	s_cselect_b32 s11, s12, s11
	s_add_i32 s12, s8, 1
	s_cmp_ge_u32 s11, s9
	s_cselect_b32 s8, s12, s8
	s_xor_b32 s8, s8, s10
	s_sub_i32 s37, s8, s10
	s_abs_i32 s36, s37
	v_cvt_f32_u32_e32 v1, s36
	s_load_dwordx16 s[8:23], s[4:5], 0x0
	v_rcp_iflag_f32_e32 v1, v1
	s_waitcnt lgkmcnt(0)
	s_cmp_eq_u64 s[14:15], 0
	v_mul_f32_e32 v1, 0x4f7ffffe, v1
	v_cvt_u32_f32_e32 v1, v1
	v_readfirstlane_b32 s38, v1
	s_cbranch_scc1 .LBB29_2
; %bb.1:
	s_abs_i32 s26, s34
	v_cvt_f32_u32_e32 v1, s26
	s_sub_i32 s31, 0, s26
	s_abs_i32 s30, s33
	s_ashr_i32 s27, s33, 31
	v_rcp_iflag_f32_e32 v1, v1
	s_load_dwordx2 s[24:25], s[4:5], 0xc8
	v_mul_f32_e32 v1, 0x4f7ffffe, v1
	v_cvt_u32_f32_e32 v1, v1
	v_readfirstlane_b32 s34, v1
	s_mul_i32 s31, s31, s34
	s_mul_hi_u32 s31, s34, s31
	s_add_i32 s34, s34, s31
	s_mul_hi_u32 s31, s30, s34
	s_mul_i32 s31, s31, s26
	s_sub_i32 s30, s30, s31
	s_sub_i32 s31, s30, s26
	s_cmp_ge_u32 s30, s26
	s_cselect_b32 s30, s31, s30
	s_sub_i32 s31, s30, s26
	s_cmp_ge_u32 s30, s26
	s_cselect_b32 s26, s31, s30
	s_xor_b32 s26, s26, s27
	s_sub_i32 s26, s26, s27
	s_ashr_i32 s27, s26, 31
	s_waitcnt lgkmcnt(0)
	s_mul_i32 s25, s26, s25
	s_mul_hi_u32 s30, s26, s24
	s_add_i32 s25, s30, s25
	s_mul_i32 s27, s27, s24
	s_add_i32 s25, s25, s27
	s_mul_i32 s26, s26, s24
	s_add_u32 s30, s14, s26
	s_addc_u32 s31, s15, s25
.LBB29_2:
	s_load_dwordx4 s[24:27], s[4:5], 0x70
	v_bfe_u32 v3, v0, 10, 10
	v_lshrrev_b32_e32 v1, 1, v3
	v_lshl_add_u32 v9, s6, 3, v1
	v_mul_hi_u32 v1, s0, v9
	s_waitcnt lgkmcnt(0)
	s_mul_i32 s14, s33, s26
	s_ashr_i32 s26, s14, 31
	s_mul_i32 s15, s29, s25
	s_add_u32 s8, s8, s14
	v_add_u32_e32 v1, v9, v1
	s_addc_u32 s9, s9, s26
	s_ashr_i32 s14, s15, 31
	v_lshrrev_b32_e32 v1, s1, v1
	s_add_u32 s8, s8, s15
	v_mul_lo_u32 v1, v1, s2
	s_addc_u32 s9, s9, s14
	v_sub_u32_e32 v14, v9, v1
	s_ashr_i32 s15, s24, 31
	v_mov_b32_e32 v1, s24
	v_alignbit_b32 v1, s15, v1, 2
	v_mad_u64_u32 v[4:5], s[0:1], v1, v14, 0
	v_mov_b32_e32 v2, v5
	s_lshr_b32 s0, s15, 2
	v_mad_u64_u32 v[6:7], s[0:1], s0, v14, v[2:3]
	v_mov_b32_e32 v5, v6
	v_and_b32_e32 v8, 0x3ff, v0
	v_lshlrev_b64 v[0:1], 2, v[4:5]
	v_mov_b32_e32 v2, s9
	v_add_co_u32_e32 v0, vcc, s8, v0
	v_addc_co_u32_e32 v1, vcc, v2, v1, vcc
	v_lshlrev_b32_e32 v2, 4, v8
	v_lshlrev_b32_e32 v15, 1, v3
	s_ashr_i32 s14, s25, 31
	v_add_co_u32_e32 v18, vcc, v0, v2
	v_mov_b32_e32 v0, s25
	v_and_b32_e32 v21, 2, v15
	s_lshr_b32 s8, s14, 2
	v_alignbit_b32 v16, s14, v0, 2
	v_addc_co_u32_e32 v19, vcc, 0, v1, vcc
	v_mul_lo_u32 v2, s8, v21
	v_mad_u64_u32 v[0:1], s[0:1], v16, v21, 0
	v_or_b32_e32 v1, v1, v2
	v_lshlrev_b64 v[0:1], 2, v[0:1]
	v_add_co_u32_e32 v0, vcc, v18, v0
	v_addc_co_u32_e32 v1, vcc, v19, v1, vcc
	global_load_dwordx4 v[4:7], v[0:1], off
	global_load_dwordx4 v[10:13], v[0:1], off offset:512
	global_load_dwordx4 v[22:25], v[0:1], off offset:1024
	;; [unrolled: 1-line block ×3, first 2 shown]
	v_or_b32_e32 v15, 1, v15
	v_and_b32_e32 v17, 3, v15
	v_mad_u64_u32 v[0:1], s[0:1], v16, v17, 0
	v_mov_b32_e32 v2, v1
	v_mad_u64_u32 v[16:17], s[0:1], s8, v17, v[2:3]
	v_mov_b32_e32 v1, v16
	v_lshlrev_b64 v[0:1], 2, v[0:1]
	v_add_co_u32_e32 v0, vcc, v18, v0
	v_addc_co_u32_e32 v1, vcc, v19, v1, vcc
	global_load_dwordx4 v[30:33], v[0:1], off
	global_load_dwordx4 v[34:37], v[0:1], off offset:512
	global_load_dwordx4 v[38:41], v[0:1], off offset:1024
	;; [unrolled: 1-line block ×3, first 2 shown]
	s_load_dword s0, s[4:5], 0x40
	s_mov_b32 s1, 0
	v_lshlrev_b32_e32 v2, 1, v8
	v_lshlrev_b32_e32 v16, 9, v3
	v_add_lshl_u32 v17, v16, v2, 2
	s_cmp_eq_u64 s[18:19], 0
	s_waitcnt vmcnt(7) lgkmcnt(0)
	v_pk_mul_f32 v[0:1], v[4:5], s[0:1] op_sel_hi:[1,0]
	v_pk_mul_f32 v[4:5], v[6:7], s[0:1] op_sel_hi:[1,0]
	s_waitcnt vmcnt(6)
	v_pk_mul_f32 v[6:7], v[10:11], s[0:1] op_sel_hi:[1,0]
	v_pk_mul_f32 v[10:11], v[12:13], s[0:1] op_sel_hi:[1,0]
	v_cvt_f16_f32_e32 v20, v1
	v_cvt_f16_f32_e32 v0, v0
	;; [unrolled: 1-line block ×8, first 2 shown]
	s_waitcnt vmcnt(5)
	v_pk_mul_f32 v[12:13], v[22:23], s[0:1] op_sel_hi:[1,0]
	v_pk_mul_f32 v[18:19], v[24:25], s[0:1] op_sel_hi:[1,0]
	s_waitcnt vmcnt(4)
	v_pk_mul_f32 v[22:23], v[26:27], s[0:1] op_sel_hi:[1,0]
	v_pk_mul_f32 v[24:25], v[28:29], s[0:1] op_sel_hi:[1,0]
	v_pack_b32_f16 v1, v4, v1
	v_pack_b32_f16 v0, v0, v20
	;; [unrolled: 1-line block ×4, first 2 shown]
	v_cvt_f16_f32_e32 v11, v13
	v_cvt_f16_f32_e32 v12, v12
	;; [unrolled: 1-line block ×6, first 2 shown]
	ds_write2_b64 v17, v[0:1], v[4:5] offset1:32
	v_cvt_f16_f32_e32 v4, v24
	v_cvt_f16_f32_e32 v6, v22
	v_pack_b32_f16 v1, v18, v13
	v_pack_b32_f16 v0, v12, v11
	;; [unrolled: 1-line block ×4, first 2 shown]
	ds_write2_b64 v17, v[0:1], v[4:5] offset0:64 offset1:96
	s_waitcnt vmcnt(3)
	v_pk_mul_f32 v[0:1], v[30:31], s[0:1] op_sel_hi:[1,0]
	v_lshlrev_b32_e32 v4, 8, v15
	v_cvt_f16_f32_e32 v6, v1
	v_cvt_f16_f32_e32 v7, v0
	v_pk_mul_f32 v[0:1], v[32:33], s[0:1] op_sel_hi:[1,0]
	v_cvt_f16_f32_e32 v10, v1
	v_cvt_f16_f32_e32 v11, v0
	v_add_lshl_u32 v2, v4, v2, 2
	s_waitcnt vmcnt(2)
	v_pk_mul_f32 v[0:1], v[34:35], s[0:1] op_sel_hi:[1,0]
	v_pk_mul_f32 v[4:5], v[36:37], s[0:1] op_sel_hi:[1,0]
	v_cvt_f16_f32_e32 v12, v1
	v_cvt_f16_f32_e32 v5, v5
	;; [unrolled: 1-line block ×4, first 2 shown]
	v_pack_b32_f16 v1, v11, v10
	v_pack_b32_f16 v0, v7, v6
	v_pack_b32_f16 v5, v4, v5
	v_pack_b32_f16 v4, v13, v12
	ds_write2_b64 v2, v[0:1], v[4:5] offset1:32
	s_waitcnt vmcnt(1)
	v_pk_mul_f32 v[0:1], v[38:39], s[0:1] op_sel_hi:[1,0]
	v_cvt_f16_f32_e32 v6, v1
	v_cvt_f16_f32_e32 v7, v0
	v_pk_mul_f32 v[0:1], v[40:41], s[0:1] op_sel_hi:[1,0]
	v_cvt_f16_f32_e32 v10, v1
	v_cvt_f16_f32_e32 v11, v0
	s_waitcnt vmcnt(0)
	v_pk_mul_f32 v[0:1], v[42:43], s[0:1] op_sel_hi:[1,0]
	v_pk_mul_f32 v[4:5], v[44:45], s[0:1] op_sel_hi:[1,0]
	v_cvt_f16_f32_e32 v12, v1
	v_cvt_f16_f32_e32 v5, v5
	;; [unrolled: 1-line block ×4, first 2 shown]
	v_pack_b32_f16 v1, v11, v10
	v_pack_b32_f16 v0, v7, v6
	v_pack_b32_f16 v5, v4, v5
	v_pack_b32_f16 v4, v13, v12
	ds_write2_b64 v2, v[0:1], v[4:5] offset0:64 offset1:96
	s_waitcnt lgkmcnt(0)
	s_barrier
	s_cbranch_scc1 .LBB29_4
; %bb.3:
	s_load_dword s0, s[4:5], 0xd0
	s_waitcnt lgkmcnt(0)
	s_mul_i32 s0, s0, s33
	s_add_i32 s0, s0, s6
	s_lshl_b64 s[0:1], s[0:1], 2
	s_add_u32 s0, s18, s0
	s_addc_u32 s1, s19, s1
	s_load_dword s28, s[0:1], 0x0
.LBB29_4:
	s_lshl_b32 s6, s7, 7
	v_lshlrev_b32_e32 v23, 2, v8
	s_waitcnt lgkmcnt(0)
	s_cmp_lt_i32 s6, s28
	v_mbcnt_lo_u32_b32 v26, -1, 0
	s_cbranch_scc1 .LBB29_6
; %bb.5:
	v_mbcnt_hi_u32_b32 v15, -1, v26
	v_and_b32_e32 v0, 0x60, v15
	s_mov_b32 s0, 0xfeffffff
	s_mov_b32 s14, 0
	v_add_u32_e32 v62, 32, v0
	v_xor_b32_e32 v67, 16, v15
	v_xor_b32_e32 v63, 8, v15
	;; [unrolled: 1-line block ×5, first 2 shown]
	s_mov_b32 s1, s0
	s_mov_b64 s[8:9], 0
	s_branch .LBB29_7
.LBB29_6:
	s_mov_b64 s[8:9], -1
                                        ; implicit-def: $sgpr14
                                        ; implicit-def: $sgpr0_sgpr1
                                        ; implicit-def: $vgpr15
                                        ; implicit-def: $vgpr62
                                        ; implicit-def: $vgpr67
                                        ; implicit-def: $vgpr63
                                        ; implicit-def: $vgpr64
                                        ; implicit-def: $vgpr65
                                        ; implicit-def: $vgpr66
.LBB29_7:
	s_andn2_b64 vcc, exec, s[8:9]
	v_mov_b32_e32 v13, s14
	v_mov_b32_e32 v60, s14
	v_pk_mov_b32 v[10:11], s[0:1], s[0:1] op_sel:[0,1]
	v_mov_b32_e32 v59, s14
	v_mov_b32_e32 v12, s14
	;; [unrolled: 1-line block ×16, first 2 shown]
	s_cbranch_vccnz .LBB29_42
; %bb.8:
	s_sub_i32 s0, 0, s36
	s_mul_i32 s0, s0, s38
	s_mul_hi_u32 s0, s38, s0
	s_add_i32 s38, s38, s0
	s_load_dwordx4 s[24:27], s[4:5], 0x98
	s_load_dword s0, s[4:5], 0x54
	s_load_dwordx2 s[8:9], s[4:5], 0x8c
	s_abs_i32 s1, s29
	s_mul_hi_u32 s18, s1, s38
	s_waitcnt lgkmcnt(0)
	s_ashr_i32 s14, s26, 2
	s_ashr_i32 s26, s35, 1
	;; [unrolled: 1-line block ×4, first 2 shown]
	s_mul_i32 s25, s33, s25
	s_mul_hi_u32 s35, s33, s24
	s_add_i32 s25, s35, s25
	s_mul_i32 s35, s8, s24
	s_ashr_i32 s19, s29, 31
	s_ashr_i32 s34, s37, 31
	s_add_i32 s25, s25, s35
	s_mul_i32 s24, s33, s24
	s_add_u32 s10, s10, s24
	s_mul_i32 s24, s18, s36
	s_addc_u32 s11, s11, s25
	s_sub_i32 s1, s1, s24
	s_xor_b32 s19, s19, s34
	s_add_i32 s24, s18, 1
	s_sub_i32 s25, s1, s36
	s_cmp_ge_u32 s1, s36
	s_cselect_b32 s18, s24, s18
	s_cselect_b32 s1, s25, s1
	s_add_i32 s24, s18, 1
	s_cmp_ge_u32 s1, s36
	s_load_dwordx2 s[38:39], s[4:5], 0xa8
	s_cselect_b32 s1, s24, s18
	s_xor_b32 s1, s1, s19
	s_sub_i32 s1, s1, s19
	s_mul_i32 s9, s1, s9
	s_ashr_i32 s19, s9, 31
	s_add_u32 s18, s10, s9
	s_waitcnt lgkmcnt(0)
	s_mul_i32 s9, s33, s39
	s_mul_hi_u32 s10, s33, s38
	s_addc_u32 s19, s11, s19
	s_add_i32 s9, s10, s9
	s_mul_i32 s8, s8, s38
	s_add_i32 s9, s9, s8
	s_mul_i32 s8, s33, s38
	s_add_u32 s8, s12, s8
	s_mul_i32 s1, s1, s27
	v_lshrrev_b32_e32 v0, 3, v8
	s_addc_u32 s9, s13, s9
	s_ashr_i32 s10, s1, 31
	v_lshl_add_u32 v2, v3, 2, v0
	v_and_b32_e32 v0, 28, v23
	s_add_u32 s1, s8, s1
	v_lshlrev_b32_e32 v4, 2, v0
	s_movk_i32 s8, 0x90
	v_mad_u32_u24 v6, v2, s8, v4
	v_mul_lo_u32 v4, s15, v2
	v_mov_b32_e32 v2, 0x8010
	v_mad_u32_u24 v37, v8, s8, v2
	v_mov_b32_e32 v2, 0x8020
	v_mad_u32_u24 v38, v8, s8, v2
	;; [unrolled: 2-line block ×7, first 2 shown]
	v_lshlrev_b32_e32 v11, 2, v23
	v_mul_lo_u32 v2, s14, v3
	v_lshlrev_b32_e32 v36, 11, v3
	v_lshl_add_u32 v12, v3, 10, v11
	v_ashrrev_i32_e32 v3, 31, v2
	s_addc_u32 s10, s9, s10
	v_lshlrev_b64 v[2:3], 2, v[2:3]
	v_mov_b32_e32 v10, 0x8000
	v_mov_b32_e32 v13, s10
	v_add_co_u32_e32 v2, vcc, s1, v2
	v_add_u32_e32 v25, 0x8000, v6
	v_add_u32_e32 v34, 0xa400, v6
	v_lshl_add_u32 v6, s15, 6, v4
	v_mad_u32_u24 v35, v8, s8, v10
	v_mad_u64_u32 v[14:15], s[8:9], v14, s26, v[8:9]
	v_addc_co_u32_e32 v3, vcc, v13, v3, vcc
	v_mov_b32_e32 v1, 0
	v_ashrrev_i32_e32 v5, 31, v4
	v_ashrrev_i32_e32 v7, 31, v6
	v_lshl_or_b32 v47, v8, 3, v10
	s_add_u32 s8, s4, 0xd0
	v_add_co_u32_e32 v48, vcc, v2, v11
	v_mov_b32_e32 v10, 0xfeffffff
	v_add_u32_e32 v44, 0xc800, v16
	v_add_u32_e32 v45, 0x8000, v12
	;; [unrolled: 1-line block ×3, first 2 shown]
	s_addc_u32 s9, s5, 0
	s_mov_b32 s1, s0
	v_addc_co_u32_e32 v49, vcc, 0, v3, vcc
	v_lshlrev_b64 v[16:17], 2, v[4:5]
	v_lshlrev_b32_e32 v50, 2, v0
	v_lshlrev_b64 v[18:19], 2, v[6:7]
	s_mov_b32 s12, 0x3f200000
	s_mov_b32 s13, 0x3fb8aa3b
	;; [unrolled: 1-line block ×4, first 2 shown]
	v_mov_b32_e32 v51, 0xbd5c1c4e
	v_mov_b32_e32 v52, 0x3e088382
	;; [unrolled: 1-line block ×3, first 2 shown]
	s_brev_b32 s26, -2
	v_mbcnt_hi_u32_b32 v15, -1, v26
	v_mov_b32_e32 v54, 0x7f800000
	v_mov_b32_e32 v59, 0
	v_mov_b32_e32 v0, 0
	v_mov_b32_e32 v5, 0
	v_mov_b32_e32 v2, 0
	v_mov_b32_e32 v7, 0
	v_mov_b32_e32 v4, 0
	v_mov_b32_e32 v56, 0
	v_mov_b32_e32 v6, 0
	v_mov_b32_e32 v55, 0
	v_mov_b32_e32 v20, 0
	v_mov_b32_e32 v57, 0
	v_mov_b32_e32 v24, 0
	v_mov_b32_e32 v58, 0
	v_mov_b32_e32 v22, 0
	v_mov_b32_e32 v60, 0
	v_mov_b32_e32 v11, v10
	v_mov_b32_e32 v12, 0
	v_mov_b32_e32 v13, v1
	s_branch .LBB29_10
.LBB29_9:                               ;   in Loop: Header=BB29_10 Depth=1
	s_or_b64 exec, exec, s[10:11]
	v_cvt_f32_f16_e32 v82, v29
	v_cvt_f32_f16_e32 v83, v68
	;; [unrolled: 1-line block ×4, first 2 shown]
	v_bfi_b32 v69, s26, v78, v32
	v_bfi_b32 v68, s26, v77, v3
	;; [unrolled: 1-line block ×4, first 2 shown]
	v_pk_fma_f32 v[68:69], v[68:69], s[0:1], v[82:83]
	v_fmac_f32_e32 v29, s0, v3
	v_fmac_f32_e32 v27, s0, v32
	v_add_f32_e32 v33, 0x40051340, v68
	v_add_f32_e32 v61, 0x40051340, v69
	;; [unrolled: 1-line block ×4, first 2 shown]
	v_max3_f32 v33, v11, v33, v61
	v_max3_f32 v3, v33, v3, v32
	ds_bpermute_b32 v32, v70, v3
	v_mov_b32_e32 v33, v11
	s_mul_hi_i32 s11, s6, s14
	s_mul_i32 s10, s6, s14
	s_lshl_b64 s[10:11], s[10:11], 2
	s_waitcnt lgkmcnt(0)
	v_max_f32_e32 v32, v32, v32
	v_max_f32_e32 v3, v3, v32
	ds_bpermute_b32 v32, v71, v3
	s_waitcnt lgkmcnt(0)
	s_barrier
	v_max_f32_e32 v32, v32, v32
	v_max_f32_e32 v3, v3, v32
	ds_bpermute_b32 v32, v72, v3
	s_waitcnt lgkmcnt(0)
	v_max_f32_e32 v32, v32, v32
	v_max_f32_e32 v3, v3, v32
	ds_bpermute_b32 v61, v75, v3
	v_mov_b32_e32 v32, v10
	s_waitcnt lgkmcnt(0)
	v_max_f32_e32 v10, v61, v61
	v_max_f32_e32 v3, v3, v10
	ds_bpermute_b32 v11, v76, v3
	v_max_f32_e32 v10, v74, v74
	v_max_f32_e32 v61, v73, v73
	;; [unrolled: 1-line block ×3, first 2 shown]
	s_waitcnt lgkmcnt(0)
	v_max_f32_e32 v11, v11, v11
	v_max_f32_e32 v11, v3, v11
	v_pk_add_f32 v[30:31], v[30:31], v[10:11] op_sel_hi:[1,0] neg_lo:[0,1] neg_hi:[0,1]
	v_mul_f32_e32 v3, 0x3fb8aa3b, v31
	v_fma_f32 v61, v31, s13, -v3
	v_rndne_f32_e32 v70, v3
	v_fmac_f32_e32 v61, 0x32a5705f, v31
	v_sub_f32_e32 v3, v3, v70
	v_add_f32_e32 v3, v3, v61
	v_cvt_i32_f32_e32 v70, v70
	v_exp_f32_e32 v3, v3
	v_mul_f32_e32 v61, 0x3fb8aa3b, v30
	v_fma_f32 v71, v30, s13, -v61
	v_fmac_f32_e32 v71, 0x32a5705f, v30
	v_ldexp_f32 v3, v3, v70
	v_rndne_f32_e32 v70, v61
	v_sub_f32_e32 v61, v61, v70
	v_add_f32_e32 v61, v61, v71
	v_exp_f32_e32 v61, v61
	v_cvt_i32_f32_e32 v70, v70
	v_cmp_ngt_f32_e32 vcc, s24, v31
	v_pk_add_f32 v[28:29], v[28:29], v[10:11] neg_lo:[0,1] neg_hi:[0,1]
	v_cndmask_b32_e32 v3, 0, v3, vcc
	v_cmp_nlt_f32_e32 vcc, s25, v31
	v_mul_f32_e32 v31, 0x3fb8aa3b, v29
	v_cndmask_b32_e32 v72, v54, v3, vcc
	v_ldexp_f32 v3, v61, v70
	v_fma_f32 v61, v29, s13, -v31
	v_rndne_f32_e32 v70, v31
	v_fmac_f32_e32 v61, 0x32a5705f, v29
	v_sub_f32_e32 v31, v31, v70
	v_add_f32_e32 v31, v31, v61
	v_exp_f32_e32 v31, v31
	v_cvt_i32_f32_e32 v61, v70
	v_cmp_ngt_f32_e32 vcc, s24, v30
	v_cndmask_b32_e32 v3, 0, v3, vcc
	v_cmp_nlt_f32_e32 vcc, s25, v30
	v_ldexp_f32 v31, v31, v61
	v_mul_f32_e32 v61, 0x3fb8aa3b, v28
	v_fma_f32 v70, v28, s13, -v61
	v_rndne_f32_e32 v71, v61
	v_fmac_f32_e32 v70, 0x32a5705f, v28
	v_sub_f32_e32 v61, v61, v71
	v_add_f32_e32 v61, v61, v70
	v_exp_f32_e32 v61, v61
	v_cvt_i32_f32_e32 v70, v71
	v_cndmask_b32_e32 v30, v54, v3, vcc
	v_cmp_ngt_f32_e32 vcc, s24, v29
	v_cndmask_b32_e32 v31, 0, v31, vcc
	v_cmp_nlt_f32_e32 vcc, s25, v29
	v_ldexp_f32 v29, v61, v70
	v_mov_b32_e32 v70, v11
	v_pk_add_f32 v[68:69], v[68:69], v[70:71] op_sel_hi:[1,0] neg_lo:[0,1] neg_hi:[0,1]
	v_cndmask_b32_e32 v75, v54, v31, vcc
	v_mul_f32_e32 v31, 0x3fb8aa3b, v69
	v_fma_f32 v61, v69, s13, -v31
	v_rndne_f32_e32 v70, v31
	v_fmac_f32_e32 v61, 0x32a5705f, v69
	v_sub_f32_e32 v31, v31, v70
	v_add_f32_e32 v31, v31, v61
	v_exp_f32_e32 v31, v31
	v_cvt_i32_f32_e32 v61, v70
	v_cmp_ngt_f32_e32 vcc, s24, v28
	v_cndmask_b32_e32 v29, 0, v29, vcc
	v_cmp_nlt_f32_e32 vcc, s25, v28
	v_cndmask_b32_e32 v74, v54, v29, vcc
	v_mul_f32_e32 v29, 0x3fb8aa3b, v68
	v_ldexp_f32 v28, v31, v61
	v_fma_f32 v31, v68, s13, -v29
	v_rndne_f32_e32 v61, v29
	v_fmac_f32_e32 v31, 0x32a5705f, v68
	v_sub_f32_e32 v29, v29, v61
	v_add_f32_e32 v29, v29, v31
	v_exp_f32_e32 v29, v29
	v_cvt_i32_f32_e32 v31, v61
	v_cmp_ngt_f32_e32 vcc, s24, v69
	v_cndmask_b32_e32 v28, 0, v28, vcc
	v_cmp_nlt_f32_e32 vcc, s25, v69
	v_pk_add_f32 v[76:77], v[26:27], v[10:11] neg_lo:[0,1] neg_hi:[0,1]
	v_cndmask_b32_e32 v73, v54, v28, vcc
	v_ldexp_f32 v28, v29, v31
	v_cmp_ngt_f32_e32 vcc, s24, v68
	v_mul_f32_e32 v26, 0x3fb8aa3b, v77
	v_cndmask_b32_e32 v28, 0, v28, vcc
	v_cmp_nlt_f32_e32 vcc, s25, v68
	v_rndne_f32_e32 v83, v26
	v_cndmask_b32_e32 v31, v54, v28, vcc
	v_fma_f32 v82, v77, s13, -v26
	v_sub_f32_e32 v84, v26, v83
	v_mov_b32_e32 v26, s11
	v_add_co_u32_e32 v78, vcc, s10, v48
	v_addc_co_u32_e32 v79, vcc, v49, v26, vcc
	global_load_dwordx4 v[26:29], v[78:79], off
	global_load_dwordx4 v[68:71], v[78:79], off offset:512
	v_fmac_f32_e32 v82, 0x32a5705f, v77
	v_add_f32_e32 v78, v84, v82
	v_exp_f32_e32 v78, v78
	v_cvt_i32_f32_e32 v79, v83
	v_cvt_f16_f32_e32 v61, v75
	v_cvt_f16_f32_e32 v81, v74
	v_cmp_ngt_f32_e32 vcc, s24, v77
	v_ldexp_f32 v78, v78, v79
	v_mul_f32_e32 v79, 0x3fb8aa3b, v76
	v_pack_b32_f16 v61, v81, v61
	v_fma_f32 v81, v76, s13, -v79
	v_rndne_f32_e32 v84, v79
	v_fmac_f32_e32 v81, 0x32a5705f, v76
	v_sub_f32_e32 v79, v79, v84
	v_add_f32_e32 v79, v79, v81
	v_exp_f32_e32 v79, v79
	v_cvt_i32_f32_e32 v81, v84
	v_pk_add_f32 v[32:33], v[32:33], v[10:11] neg_lo:[0,1] neg_hi:[0,1]
	v_cvt_f16_f32_e32 v3, v30
	v_cvt_f16_f32_e32 v80, v72
	;; [unrolled: 1-line block ×3, first 2 shown]
	v_cndmask_b32_e32 v78, 0, v78, vcc
	v_cmp_nlt_f32_e32 vcc, s25, v77
	v_pk_add_f32 v[30:31], v[30:31], v[72:73]
	v_mul_f32_e32 v72, 0x3fb8aa3b, v33
	v_cvt_f16_f32_e32 v83, v73
	v_cndmask_b32_e32 v77, v54, v78, vcc
	v_ldexp_f32 v78, v79, v81
	v_cmp_ngt_f32_e32 vcc, s24, v76
	v_pk_add_f32 v[30:31], v[74:75], v[30:31]
	v_fma_f32 v73, v33, s13, -v72
	v_rndne_f32_e32 v74, v72
	v_cndmask_b32_e32 v78, 0, v78, vcc
	v_cmp_nlt_f32_e32 vcc, s25, v76
	v_fmac_f32_e32 v73, 0x32a5705f, v33
	v_sub_f32_e32 v72, v72, v74
	v_cndmask_b32_e32 v76, v54, v78, vcc
	v_add_f32_e32 v72, v72, v73
	v_cvt_i32_f32_e32 v73, v74
	v_mul_f32_e32 v74, 0x3fb8aa3b, v32
	v_cvt_f16_f32_e32 v78, v76
	v_pk_add_f32 v[30:31], v[76:77], v[30:31]
	v_fma_f32 v75, v32, s13, -v74
	v_rndne_f32_e32 v76, v74
	v_fmac_f32_e32 v75, 0x32a5705f, v32
	v_sub_f32_e32 v74, v74, v76
	v_exp_f32_e32 v72, v72
	v_add_f32_e32 v74, v74, v75
	v_exp_f32_e32 v74, v74
	v_cvt_i32_f32_e32 v75, v76
	v_ldexp_f32 v72, v72, v73
	v_cmp_ngt_f32_e32 vcc, s24, v33
	v_cndmask_b32_e32 v72, 0, v72, vcc
	v_ldexp_f32 v73, v74, v75
	v_cmp_ngt_f32_e32 vcc, s24, v32
	v_cndmask_b32_e32 v73, 0, v73, vcc
	v_cmp_nlt_f32_e32 vcc, s25, v32
	v_cndmask_b32_e32 v32, v54, v73, vcc
	v_cvt_f16_f32_e32 v76, v32
	v_cmp_nlt_f32_e32 vcc, s25, v33
	v_cndmask_b32_e32 v33, v54, v72, vcc
	v_cvt_f16_f32_e32 v79, v33
	v_pk_mul_f16 v81, v76, v6 op_sel_hi:[0,1]
	v_cvt_f16_f32_e32 v6, v77
	v_pk_fma_f32 v[12:13], v[12:13], v[32:33], v[30:31]
	v_pk_mul_f16 v84, v79, v2 op_sel_hi:[0,1]
	v_pk_mul_f16 v86, v79, v0 op_sel_hi:[0,1]
	;; [unrolled: 1-line block ×3, first 2 shown]
	v_add_u32_e32 v0, v44, v23
	v_pack_b32_f16 v1, v3, v82
	v_pack_b32_f16 v2, v80, v83
	ds_write2_b32 v0, v1, v2 offset1:32
	v_pack_b32_f16 v1, v78, v6
	v_pk_mul_f16 v77, v79, v4 op_sel_hi:[0,1]
	v_pk_mul_f16 v85, v79, v7 op_sel_hi:[0,1]
	;; [unrolled: 1-line block ×3, first 2 shown]
	ds_write2_b32 v0, v61, v1 offset0:64 offset1:96
	s_waitcnt vmcnt(1)
	ds_write_b128 v45, v[26:29]
	s_waitcnt vmcnt(0)
	ds_write_b128 v46, v[68:71]
	s_waitcnt lgkmcnt(0)
	s_barrier
	ds_read2_b64 v[26:29], v47 offset1:32
	ds_read_b128 v[30:33], v44
	ds_read2_b64 v[68:71], v47 offset0:64 offset1:96
	ds_read_b128 v[72:75], v44 offset:16
	ds_read_b128 v[4:7], v44 offset:32
	;; [unrolled: 1-line block ×3, first 2 shown]
	s_waitcnt lgkmcnt(4)
	v_pk_mul_f16 v61, v26, v30 op_sel_hi:[1,0]
	v_pk_mul_f16 v26, v26, v30 op_sel:[0,1]
	v_pk_mul_f16 v60, v76, v60 op_sel_hi:[0,1]
	v_pk_mul_f16 v24, v76, v24 op_sel_hi:[0,1]
	;; [unrolled: 1-line block ×5, first 2 shown]
	v_pk_fma_f16 v55, v79, v55, v26 op_sel_hi:[0,1,1]
	v_pk_mul_f16 v26, v27, v30 op_sel_hi:[1,0]
	v_pk_mul_f16 v20, v76, v20 op_sel_hi:[0,1]
	v_pk_fma_f16 v61, v76, v59, v61 op_sel_hi:[0,1,1]
	v_pk_fma_f16 v22, v76, v22, v26 op_sel_hi:[0,1,1]
	v_pk_fma_f16 v76, v27, v30, v77 op_sel:[0,1,0]
	v_pk_fma_f16 v60, v28, v30, v60 op_sel_hi:[1,0,1]
	v_pk_fma_f16 v77, v28, v30, v56 op_sel:[0,1,0]
	;; [unrolled: 2-line block ×3, first 2 shown]
	s_waitcnt lgkmcnt(3)
	v_pk_fma_f16 v79, v68, v30, v58 op_sel_hi:[1,0,1]
	v_pk_fma_f16 v80, v70, v30, v57 op_sel_hi:[1,0,1]
	ds_read2_b64 v[26:29], v47 offset0:128 offset1:160
	ds_read2_b64 v[56:59], v47 offset0:192 offset1:224
	v_pk_fma_f16 v20, v69, v30, v20 op_sel_hi:[1,0,1]
	v_pk_fma_f16 v68, v68, v30, v85 op_sel:[0,1,0]
	v_pk_fma_f16 v69, v69, v30, v86 op_sel:[0,1,0]
	;; [unrolled: 1-line block ×3, first 2 shown]
	v_pk_fma_f16 v81, v71, v30, v81 op_sel_hi:[1,0,1]
	v_pk_fma_f16 v30, v71, v30, v88 op_sel:[0,1,0]
	s_waitcnt lgkmcnt(1)
	v_pk_fma_f16 v71, v27, v31, v76 op_sel:[0,1,0]
	v_pk_fma_f16 v76, v28, v31, v77 op_sel:[0,1,0]
	;; [unrolled: 1-line block ×3, first 2 shown]
	s_waitcnt lgkmcnt(0)
	v_pk_fma_f16 v78, v56, v31, v79 op_sel_hi:[1,0,1]
	v_pk_fma_f16 v79, v57, v31, v20 op_sel_hi:[1,0,1]
	v_add_u32_e32 v20, 0x800, v47
	v_pk_fma_f16 v61, v26, v31, v61 op_sel_hi:[1,0,1]
	v_pk_fma_f16 v55, v26, v31, v55 op_sel:[0,1,0]
	v_pk_fma_f16 v22, v27, v31, v22 op_sel_hi:[1,0,1]
	v_pk_fma_f16 v60, v28, v31, v60 op_sel_hi:[1,0,1]
	;; [unrolled: 1-line block ×3, first 2 shown]
	ds_read2_b64 v[26:29], v20 offset1:32
	v_pk_fma_f16 v68, v56, v31, v68 op_sel:[0,1,0]
	v_pk_fma_f16 v69, v57, v31, v69 op_sel:[0,1,0]
	v_pk_fma_f16 v80, v58, v31, v80 op_sel_hi:[1,0,1]
	v_pk_fma_f16 v70, v58, v31, v70 op_sel:[0,1,0]
	v_pk_fma_f16 v81, v59, v31, v81 op_sel_hi:[1,0,1]
	v_pk_fma_f16 v30, v59, v31, v30 op_sel:[0,1,0]
	ds_read2_b64 v[56:59], v20 offset0:64 offset1:96
	s_waitcnt lgkmcnt(1)
	v_pk_fma_f16 v31, v26, v32, v61 op_sel_hi:[1,0,1]
	v_pk_fma_f16 v55, v26, v32, v55 op_sel:[0,1,0]
	v_pk_fma_f16 v22, v27, v32, v22 op_sel_hi:[1,0,1]
	v_pk_fma_f16 v61, v27, v32, v71 op_sel:[0,1,0]
	v_pk_fma_f16 v60, v28, v32, v60 op_sel_hi:[1,0,1]
	v_pk_fma_f16 v71, v28, v32, v76 op_sel:[0,1,0]
	v_pk_fma_f16 v24, v29, v32, v24 op_sel_hi:[1,0,1]
	v_pk_fma_f16 v76, v29, v32, v77 op_sel:[0,1,0]
	ds_read2_b64 v[26:29], v20 offset0:128 offset1:160
	s_waitcnt lgkmcnt(1)
	v_pk_fma_f16 v77, v56, v32, v78 op_sel_hi:[1,0,1]
	v_pk_fma_f16 v68, v56, v32, v68 op_sel:[0,1,0]
	v_pk_fma_f16 v78, v57, v32, v79 op_sel_hi:[1,0,1]
	v_pk_fma_f16 v69, v57, v32, v69 op_sel:[0,1,0]
	;; [unrolled: 2-line block ×4, first 2 shown]
	ds_read2_b64 v[56:59], v20 offset0:192 offset1:224
	s_waitcnt lgkmcnt(1)
	v_pk_fma_f16 v82, v29, v33, v24 op_sel_hi:[1,0,1]
	v_add_u32_e32 v24, 0x1000, v47
	v_pk_fma_f16 v81, v26, v33, v31 op_sel_hi:[1,0,1]
	v_pk_fma_f16 v55, v26, v33, v55 op_sel:[0,1,0]
	v_pk_fma_f16 v22, v27, v33, v22 op_sel_hi:[1,0,1]
	v_pk_fma_f16 v61, v27, v33, v61 op_sel:[0,1,0]
	;; [unrolled: 2-line block ×3, first 2 shown]
	v_pk_fma_f16 v76, v29, v33, v76 op_sel:[0,1,0]
	ds_read2_b64 v[26:29], v24 offset1:32
	s_waitcnt lgkmcnt(1)
	v_pk_fma_f16 v77, v56, v33, v77 op_sel_hi:[1,0,1]
	v_pk_fma_f16 v56, v56, v33, v68 op_sel:[0,1,0]
	v_pk_fma_f16 v68, v57, v33, v78 op_sel_hi:[1,0,1]
	v_pk_fma_f16 v57, v57, v33, v69 op_sel:[0,1,0]
	v_pk_fma_f16 v69, v58, v33, v79 op_sel_hi:[1,0,1]
	v_pk_fma_f16 v58, v58, v33, v70 op_sel:[0,1,0]
	v_pk_fma_f16 v70, v59, v33, v80 op_sel_hi:[1,0,1]
	v_pk_fma_f16 v59, v59, v33, v30 op_sel:[0,1,0]
	ds_read2_b64 v[30:33], v24 offset0:64 offset1:96
	s_waitcnt lgkmcnt(1)
	v_pk_fma_f16 v78, v26, v72, v81 op_sel_hi:[1,0,1]
	v_pk_fma_f16 v55, v26, v72, v55 op_sel:[0,1,0]
	v_pk_fma_f16 v22, v27, v72, v22 op_sel_hi:[1,0,1]
	v_pk_fma_f16 v61, v27, v72, v61 op_sel:[0,1,0]
	v_pk_fma_f16 v60, v28, v72, v60 op_sel_hi:[1,0,1]
	v_pk_fma_f16 v71, v28, v72, v71 op_sel:[0,1,0]
	v_pk_fma_f16 v79, v29, v72, v82 op_sel_hi:[1,0,1]
	v_pk_fma_f16 v76, v29, v72, v76 op_sel:[0,1,0]
	ds_read2_b64 v[26:29], v24 offset0:128 offset1:160
	;; [unrolled: 10-line block ×3, first 2 shown]
	s_waitcnt lgkmcnt(1)
	v_pk_fma_f16 v72, v26, v73, v78 op_sel_hi:[1,0,1]
	v_pk_fma_f16 v55, v26, v73, v55 op_sel:[0,1,0]
	v_add_u32_e32 v26, 0x1800, v47
	v_pk_fma_f16 v22, v27, v73, v22 op_sel_hi:[1,0,1]
	v_pk_fma_f16 v27, v27, v73, v61 op_sel:[0,1,0]
	v_pk_fma_f16 v60, v28, v73, v60 op_sel_hi:[1,0,1]
	v_pk_fma_f16 v61, v28, v73, v71 op_sel:[0,1,0]
	;; [unrolled: 2-line block ×3, first 2 shown]
	s_waitcnt lgkmcnt(0)
	v_pk_fma_f16 v77, v30, v73, v77 op_sel_hi:[1,0,1]
	v_pk_fma_f16 v78, v30, v73, v56 op_sel:[0,1,0]
	v_pk_fma_f16 v68, v31, v73, v68 op_sel_hi:[1,0,1]
	v_pk_fma_f16 v79, v31, v73, v57 op_sel:[0,1,0]
	ds_read2_b64 v[28:31], v26 offset1:32
	v_pk_fma_f16 v69, v32, v73, v69 op_sel_hi:[1,0,1]
	v_pk_fma_f16 v32, v32, v73, v58 op_sel:[0,1,0]
	v_pk_fma_f16 v70, v33, v73, v70 op_sel_hi:[1,0,1]
	v_pk_fma_f16 v33, v33, v73, v59 op_sel:[0,1,0]
	ds_read2_b64 v[56:59], v26 offset0:64 offset1:96
	s_waitcnt lgkmcnt(1)
	v_pk_fma_f16 v72, v28, v74, v72 op_sel_hi:[1,0,1]
	v_pk_fma_f16 v55, v28, v74, v55 op_sel:[0,1,0]
	v_pk_fma_f16 v22, v29, v74, v22 op_sel_hi:[1,0,1]
	v_pk_fma_f16 v27, v29, v74, v27 op_sel:[0,1,0]
	v_pk_fma_f16 v60, v30, v74, v60 op_sel_hi:[1,0,1]
	v_pk_fma_f16 v61, v30, v74, v61 op_sel:[0,1,0]
	v_pk_fma_f16 v71, v31, v74, v71 op_sel_hi:[1,0,1]
	v_pk_fma_f16 v73, v31, v74, v76 op_sel:[0,1,0]
	ds_read2_b64 v[28:31], v26 offset0:128 offset1:160
	s_waitcnt lgkmcnt(1)
	v_pk_fma_f16 v76, v56, v74, v77 op_sel_hi:[1,0,1]
	v_pk_fma_f16 v77, v56, v74, v78 op_sel:[0,1,0]
	v_pk_fma_f16 v68, v57, v74, v68 op_sel_hi:[1,0,1]
	v_pk_fma_f16 v78, v57, v74, v79 op_sel:[0,1,0]
	;; [unrolled: 2-line block ×4, first 2 shown]
	s_waitcnt lgkmcnt(0)
	v_pk_fma_f16 v74, v29, v75, v27 op_sel:[0,1,0]
	v_add_u32_e32 v27, 0x2000, v47
	v_pk_fma_f16 v72, v28, v75, v72 op_sel_hi:[1,0,1]
	v_pk_fma_f16 v55, v28, v75, v55 op_sel:[0,1,0]
	v_pk_fma_f16 v22, v29, v75, v22 op_sel_hi:[1,0,1]
	v_pk_fma_f16 v60, v30, v75, v60 op_sel_hi:[1,0,1]
	v_pk_fma_f16 v61, v30, v75, v61 op_sel:[0,1,0]
	v_pk_fma_f16 v71, v31, v75, v71 op_sel_hi:[1,0,1]
	v_pk_fma_f16 v73, v31, v75, v73 op_sel:[0,1,0]
	ds_read2_b64 v[28:31], v27 offset1:32
	ds_read2_b64 v[56:59], v26 offset0:192 offset1:224
	s_or_b32 s10, s6, 16
	s_mul_hi_i32 s11, s10, s14
	s_mul_i32 s10, s10, s14
	s_waitcnt lgkmcnt(1)
	v_pk_fma_f16 v72, v28, v4, v72 op_sel_hi:[1,0,1]
	v_pk_fma_f16 v55, v28, v4, v55 op_sel:[0,1,0]
	v_pk_fma_f16 v22, v29, v4, v22 op_sel_hi:[1,0,1]
	v_pk_fma_f16 v74, v29, v4, v74 op_sel:[0,1,0]
	;; [unrolled: 2-line block ×4, first 2 shown]
	ds_read2_b64 v[28:31], v27 offset0:128 offset1:160
	s_waitcnt lgkmcnt(1)
	v_pk_fma_f16 v76, v56, v75, v76 op_sel_hi:[1,0,1]
	v_pk_fma_f16 v77, v56, v75, v77 op_sel:[0,1,0]
	v_pk_fma_f16 v68, v57, v75, v68 op_sel_hi:[1,0,1]
	v_pk_fma_f16 v78, v57, v75, v78 op_sel:[0,1,0]
	;; [unrolled: 2-line block ×4, first 2 shown]
	ds_read2_b64 v[56:59], v27 offset0:64 offset1:96
	s_waitcnt lgkmcnt(1)
	v_pk_fma_f16 v72, v28, v5, v72 op_sel_hi:[1,0,1]
	v_pk_fma_f16 v55, v28, v5, v55 op_sel:[0,1,0]
	v_add_u32_e32 v28, 0x2800, v47
	v_pk_fma_f16 v60, v30, v5, v60 op_sel_hi:[1,0,1]
	s_waitcnt lgkmcnt(0)
	v_pk_fma_f16 v75, v56, v4, v76 op_sel_hi:[1,0,1]
	v_pk_fma_f16 v76, v56, v4, v77 op_sel:[0,1,0]
	v_pk_fma_f16 v68, v57, v4, v68 op_sel_hi:[1,0,1]
	v_pk_fma_f16 v77, v57, v4, v78 op_sel:[0,1,0]
	;; [unrolled: 2-line block ×4, first 2 shown]
	ds_read2_b64 v[56:59], v27 offset0:192 offset1:224
	v_pk_fma_f16 v61, v30, v5, v61 op_sel:[0,1,0]
	v_pk_fma_f16 v71, v31, v5, v71 op_sel_hi:[1,0,1]
	v_pk_fma_f16 v73, v31, v5, v73 op_sel:[0,1,0]
	ds_read2_b64 v[30:33], v28 offset1:32
	v_pk_fma_f16 v22, v29, v5, v22 op_sel_hi:[1,0,1]
	v_pk_fma_f16 v29, v29, v5, v74 op_sel:[0,1,0]
	s_waitcnt lgkmcnt(1)
	v_pk_fma_f16 v74, v56, v5, v75 op_sel_hi:[1,0,1]
	v_pk_fma_f16 v75, v56, v5, v76 op_sel:[0,1,0]
	v_pk_fma_f16 v68, v57, v5, v68 op_sel_hi:[1,0,1]
	v_pk_fma_f16 v76, v57, v5, v77 op_sel:[0,1,0]
	;; [unrolled: 2-line block ×4, first 2 shown]
	ds_read2_b64 v[56:59], v28 offset0:64 offset1:96
	s_waitcnt lgkmcnt(1)
	v_pk_fma_f16 v5, v30, v6, v72 op_sel_hi:[1,0,1]
	v_pk_fma_f16 v55, v30, v6, v55 op_sel:[0,1,0]
	v_pk_fma_f16 v108, v31, v6, v22 op_sel_hi:[1,0,1]
	v_pk_fma_f16 v109, v31, v6, v29 op_sel:[0,1,0]
	;; [unrolled: 2-line block ×4, first 2 shown]
	ds_read2_b64 v[30:33], v28 offset0:128 offset1:160
	s_lshl_b64 s[10:11], s[10:11], 2
	s_waitcnt lgkmcnt(1)
	v_pk_fma_f16 v112, v56, v6, v74 op_sel_hi:[1,0,1]
	v_pk_fma_f16 v113, v56, v6, v75 op_sel:[0,1,0]
	v_pk_fma_f16 v114, v57, v6, v68 op_sel_hi:[1,0,1]
	v_pk_fma_f16 v115, v57, v6, v76 op_sel:[0,1,0]
	;; [unrolled: 2-line block ×4, first 2 shown]
	s_waitcnt lgkmcnt(0)
	v_pk_fma_f16 v119, v30, v7, v5 op_sel_hi:[1,0,1]
	v_mov_b32_e32 v5, s11
	v_add_co_u32_e32 v4, vcc, s10, v48
	v_add_u32_e32 v29, 0x3000, v47
	v_add_u32_e32 v22, 0x3800, v47
	v_addc_co_u32_e32 v5, vcc, v49, v5, vcc
	ds_read2_b64 v[56:59], v28 offset0:192 offset1:224
	ds_read2_b64 v[68:71], v29 offset1:32
	ds_read2_b64 v[72:75], v29 offset0:64 offset1:96
	ds_read2_b64 v[76:79], v29 offset0:128 offset1:160
	;; [unrolled: 1-line block ×3, first 2 shown]
	ds_read2_b64 v[84:87], v22 offset1:32
	ds_read2_b64 v[88:91], v22 offset0:64 offset1:96
	ds_read2_b64 v[92:95], v22 offset0:128 offset1:160
	;; [unrolled: 1-line block ×3, first 2 shown]
	s_waitcnt lgkmcnt(0)
	s_barrier
	global_load_dwordx4 v[100:103], v[4:5], off
	global_load_dwordx4 v[104:107], v[4:5], off offset:512
	v_pk_fma_f16 v30, v30, v7, v55 op_sel:[0,1,0]
	v_pk_fma_f16 v4, v31, v7, v108 op_sel_hi:[1,0,1]
	v_pk_fma_f16 v5, v31, v7, v109 op_sel:[0,1,0]
	v_pk_fma_f16 v31, v32, v7, v60 op_sel_hi:[1,0,1]
	;; [unrolled: 2-line block ×39, first 2 shown]
	v_pk_fma_f16 v88, v99, v3, v0 op_sel:[0,1,0]
	s_waitcnt vmcnt(1)
	ds_write_b128 v45, v[100:103]
	s_waitcnt vmcnt(0)
	ds_write_b128 v46, v[104:107]
	s_waitcnt lgkmcnt(0)
	s_barrier
	ds_read2_b64 v[30:33], v47 offset1:32
	ds_read_b128 v[56:59], v44 offset:64
	ds_read2_b64 v[68:71], v47 offset0:64 offset1:96
	ds_read_b128 v[72:75], v44 offset:80
	ds_read_b128 v[4:7], v44 offset:96
	;; [unrolled: 1-line block ×3, first 2 shown]
	s_waitcnt lgkmcnt(4)
	v_pk_fma_f16 v61, v30, v56, v61 op_sel_hi:[1,0,1]
	v_pk_fma_f16 v76, v30, v56, v76 op_sel:[0,1,0]
	v_pk_fma_f16 v77, v31, v56, v77 op_sel_hi:[1,0,1]
	v_pk_fma_f16 v78, v31, v56, v78 op_sel:[0,1,0]
	v_pk_fma_f16 v79, v32, v56, v79 op_sel_hi:[1,0,1]
	v_pk_fma_f16 v80, v32, v56, v80 op_sel:[0,1,0]
	v_pk_fma_f16 v81, v33, v56, v81 op_sel_hi:[1,0,1]
	v_pk_fma_f16 v82, v33, v56, v82 op_sel:[0,1,0]
	ds_read2_b64 v[30:33], v47 offset0:128 offset1:160
	s_waitcnt lgkmcnt(4)
	v_pk_fma_f16 v83, v68, v56, v83 op_sel_hi:[1,0,1]
	v_pk_fma_f16 v55, v68, v56, v55 op_sel:[0,1,0]
	v_pk_fma_f16 v84, v69, v56, v84 op_sel_hi:[1,0,1]
	v_pk_fma_f16 v85, v69, v56, v85 op_sel:[0,1,0]
	v_pk_fma_f16 v86, v70, v56, v86 op_sel_hi:[1,0,1]
	v_pk_fma_f16 v87, v70, v56, v87 op_sel:[0,1,0]
	v_pk_fma_f16 v60, v71, v56, v60 op_sel_hi:[1,0,1]
	v_pk_fma_f16 v56, v71, v56, v88 op_sel:[0,1,0]
	ds_read2_b64 v[68:71], v47 offset0:192 offset1:224
	s_waitcnt lgkmcnt(1)
	v_pk_fma_f16 v61, v30, v57, v61 op_sel_hi:[1,0,1]
	v_pk_fma_f16 v76, v30, v57, v76 op_sel:[0,1,0]
	v_pk_fma_f16 v77, v31, v57, v77 op_sel_hi:[1,0,1]
	v_pk_fma_f16 v78, v31, v57, v78 op_sel:[0,1,0]
	v_pk_fma_f16 v79, v32, v57, v79 op_sel_hi:[1,0,1]
	v_pk_fma_f16 v80, v32, v57, v80 op_sel:[0,1,0]
	v_pk_fma_f16 v81, v33, v57, v81 op_sel_hi:[1,0,1]
	v_pk_fma_f16 v82, v33, v57, v82 op_sel:[0,1,0]
	ds_read2_b64 v[30:33], v20 offset1:32
	s_waitcnt lgkmcnt(1)
	v_pk_fma_f16 v83, v68, v57, v83 op_sel_hi:[1,0,1]
	v_pk_fma_f16 v55, v68, v57, v55 op_sel:[0,1,0]
	v_pk_fma_f16 v84, v69, v57, v84 op_sel_hi:[1,0,1]
	v_pk_fma_f16 v85, v69, v57, v85 op_sel:[0,1,0]
	v_pk_fma_f16 v86, v70, v57, v86 op_sel_hi:[1,0,1]
	v_pk_fma_f16 v87, v70, v57, v87 op_sel:[0,1,0]
	v_pk_fma_f16 v60, v71, v57, v60 op_sel_hi:[1,0,1]
	v_pk_fma_f16 v56, v71, v57, v56 op_sel:[0,1,0]
	ds_read2_b64 v[68:71], v20 offset0:64 offset1:96
	s_waitcnt lgkmcnt(1)
	v_pk_fma_f16 v57, v30, v58, v61 op_sel_hi:[1,0,1]
	v_pk_fma_f16 v61, v30, v58, v76 op_sel:[0,1,0]
	v_pk_fma_f16 v76, v31, v58, v77 op_sel_hi:[1,0,1]
	v_pk_fma_f16 v77, v31, v58, v78 op_sel:[0,1,0]
	v_pk_fma_f16 v78, v32, v58, v79 op_sel_hi:[1,0,1]
	v_pk_fma_f16 v79, v32, v58, v80 op_sel:[0,1,0]
	v_pk_fma_f16 v80, v33, v58, v81 op_sel_hi:[1,0,1]
	v_pk_fma_f16 v81, v33, v58, v82 op_sel:[0,1,0]
	ds_read2_b64 v[30:33], v20 offset0:128 offset1:160
	s_waitcnt lgkmcnt(1)
	v_pk_fma_f16 v82, v68, v58, v83 op_sel_hi:[1,0,1]
	v_pk_fma_f16 v55, v68, v58, v55 op_sel:[0,1,0]
	v_pk_fma_f16 v83, v69, v58, v84 op_sel_hi:[1,0,1]
	v_pk_fma_f16 v84, v69, v58, v85 op_sel:[0,1,0]
	v_pk_fma_f16 v85, v70, v58, v86 op_sel_hi:[1,0,1]
	v_pk_fma_f16 v86, v70, v58, v87 op_sel:[0,1,0]
	v_pk_fma_f16 v60, v71, v58, v60 op_sel_hi:[1,0,1]
	v_pk_fma_f16 v56, v71, v58, v56 op_sel:[0,1,0]
	ds_read2_b64 v[68:71], v20 offset0:192 offset1:224
	s_waitcnt lgkmcnt(1)
	v_pk_fma_f16 v87, v30, v59, v57 op_sel_hi:[1,0,1]
	v_pk_fma_f16 v61, v30, v59, v61 op_sel:[0,1,0]
	v_pk_fma_f16 v76, v31, v59, v76 op_sel_hi:[1,0,1]
	v_pk_fma_f16 v77, v31, v59, v77 op_sel:[0,1,0]
	v_pk_fma_f16 v78, v32, v59, v78 op_sel_hi:[1,0,1]
	v_pk_fma_f16 v79, v32, v59, v79 op_sel:[0,1,0]
	v_pk_fma_f16 v80, v33, v59, v80 op_sel_hi:[1,0,1]
	v_pk_fma_f16 v81, v33, v59, v81 op_sel:[0,1,0]
	ds_read2_b64 v[30:33], v24 offset1:32
	s_waitcnt lgkmcnt(1)
	v_pk_fma_f16 v82, v68, v59, v82 op_sel_hi:[1,0,1]
	v_pk_fma_f16 v55, v68, v59, v55 op_sel:[0,1,0]
	v_pk_fma_f16 v68, v69, v59, v83 op_sel_hi:[1,0,1]
	v_pk_fma_f16 v69, v69, v59, v84 op_sel:[0,1,0]
	v_pk_fma_f16 v83, v70, v59, v85 op_sel_hi:[1,0,1]
	v_pk_fma_f16 v70, v70, v59, v86 op_sel:[0,1,0]
	v_pk_fma_f16 v60, v71, v59, v60 op_sel_hi:[1,0,1]
	v_pk_fma_f16 v71, v71, v59, v56 op_sel:[0,1,0]
	ds_read2_b64 v[56:59], v24 offset0:64 offset1:96
	;; [unrolled: 40-line block ×5, first 2 shown]
	s_waitcnt lgkmcnt(1)
	v_pk_fma_f16 v5, v30, v6, v71 op_sel_hi:[1,0,1]
	v_pk_fma_f16 v61, v30, v6, v61 op_sel:[0,1,0]
	v_pk_fma_f16 v108, v31, v6, v72 op_sel_hi:[1,0,1]
	v_pk_fma_f16 v109, v31, v6, v73 op_sel:[0,1,0]
	;; [unrolled: 2-line block ×4, first 2 shown]
	ds_read2_b64 v[30:33], v28 offset0:128 offset1:160
	s_or_b32 s10, s6, 32
	s_mul_hi_i32 s11, s10, s14
	s_mul_i32 s10, s10, s14
	s_lshl_b64 s[10:11], s[10:11], 2
	s_waitcnt lgkmcnt(1)
	v_pk_fma_f16 v114, v56, v6, v78 op_sel_hi:[1,0,1]
	v_pk_fma_f16 v55, v56, v6, v55 op_sel:[0,1,0]
	v_pk_fma_f16 v115, v57, v6, v68 op_sel_hi:[1,0,1]
	v_pk_fma_f16 v116, v57, v6, v69 op_sel:[0,1,0]
	v_pk_fma_f16 v117, v58, v6, v79 op_sel_hi:[1,0,1]
	v_pk_fma_f16 v118, v58, v6, v70 op_sel:[0,1,0]
	v_pk_fma_f16 v60, v59, v6, v60 op_sel_hi:[1,0,1]
	v_pk_fma_f16 v6, v59, v6, v4 op_sel:[0,1,0]
	s_waitcnt lgkmcnt(0)
	v_pk_fma_f16 v119, v30, v7, v5 op_sel_hi:[1,0,1]
	v_mov_b32_e32 v5, s11
	v_add_co_u32_e32 v4, vcc, s10, v48
	v_addc_co_u32_e32 v5, vcc, v49, v5, vcc
	ds_read2_b64 v[56:59], v28 offset0:192 offset1:224
	ds_read2_b64 v[68:71], v29 offset1:32
	ds_read2_b64 v[72:75], v29 offset0:64 offset1:96
	ds_read2_b64 v[76:79], v29 offset0:128 offset1:160
	;; [unrolled: 1-line block ×3, first 2 shown]
	ds_read2_b64 v[84:87], v22 offset1:32
	ds_read2_b64 v[88:91], v22 offset0:64 offset1:96
	ds_read2_b64 v[92:95], v22 offset0:128 offset1:160
	;; [unrolled: 1-line block ×3, first 2 shown]
	s_waitcnt lgkmcnt(0)
	s_barrier
	global_load_dwordx4 v[100:103], v[4:5], off
	global_load_dwordx4 v[104:107], v[4:5], off offset:512
	v_pk_fma_f16 v30, v30, v7, v61 op_sel:[0,1,0]
	v_pk_fma_f16 v4, v31, v7, v108 op_sel_hi:[1,0,1]
	v_pk_fma_f16 v5, v31, v7, v109 op_sel:[0,1,0]
	v_pk_fma_f16 v31, v32, v7, v110 op_sel_hi:[1,0,1]
	;; [unrolled: 2-line block ×39, first 2 shown]
	v_pk_fma_f16 v88, v99, v3, v0 op_sel:[0,1,0]
	s_waitcnt vmcnt(1)
	ds_write_b128 v45, v[100:103]
	s_waitcnt vmcnt(0)
	ds_write_b128 v46, v[104:107]
	s_waitcnt lgkmcnt(0)
	s_barrier
	ds_read2_b64 v[30:33], v47 offset1:32
	ds_read_b128 v[56:59], v44 offset:128
	ds_read2_b64 v[68:71], v47 offset0:64 offset1:96
	ds_read_b128 v[72:75], v44 offset:144
	ds_read_b128 v[4:7], v44 offset:160
	;; [unrolled: 1-line block ×3, first 2 shown]
	s_waitcnt lgkmcnt(4)
	v_pk_fma_f16 v61, v30, v56, v61 op_sel_hi:[1,0,1]
	v_pk_fma_f16 v76, v30, v56, v76 op_sel:[0,1,0]
	v_pk_fma_f16 v77, v31, v56, v77 op_sel_hi:[1,0,1]
	v_pk_fma_f16 v78, v31, v56, v78 op_sel:[0,1,0]
	v_pk_fma_f16 v79, v32, v56, v79 op_sel_hi:[1,0,1]
	v_pk_fma_f16 v80, v32, v56, v80 op_sel:[0,1,0]
	v_pk_fma_f16 v81, v33, v56, v81 op_sel_hi:[1,0,1]
	v_pk_fma_f16 v82, v33, v56, v82 op_sel:[0,1,0]
	ds_read2_b64 v[30:33], v47 offset0:128 offset1:160
	s_waitcnt lgkmcnt(4)
	v_pk_fma_f16 v83, v68, v56, v83 op_sel_hi:[1,0,1]
	v_pk_fma_f16 v55, v68, v56, v55 op_sel:[0,1,0]
	v_pk_fma_f16 v84, v69, v56, v84 op_sel_hi:[1,0,1]
	v_pk_fma_f16 v85, v69, v56, v85 op_sel:[0,1,0]
	v_pk_fma_f16 v86, v70, v56, v86 op_sel_hi:[1,0,1]
	v_pk_fma_f16 v87, v70, v56, v87 op_sel:[0,1,0]
	v_pk_fma_f16 v60, v71, v56, v60 op_sel_hi:[1,0,1]
	v_pk_fma_f16 v56, v71, v56, v88 op_sel:[0,1,0]
	ds_read2_b64 v[68:71], v47 offset0:192 offset1:224
	s_waitcnt lgkmcnt(1)
	v_pk_fma_f16 v61, v30, v57, v61 op_sel_hi:[1,0,1]
	v_pk_fma_f16 v76, v30, v57, v76 op_sel:[0,1,0]
	v_pk_fma_f16 v77, v31, v57, v77 op_sel_hi:[1,0,1]
	v_pk_fma_f16 v78, v31, v57, v78 op_sel:[0,1,0]
	v_pk_fma_f16 v79, v32, v57, v79 op_sel_hi:[1,0,1]
	v_pk_fma_f16 v80, v32, v57, v80 op_sel:[0,1,0]
	v_pk_fma_f16 v81, v33, v57, v81 op_sel_hi:[1,0,1]
	v_pk_fma_f16 v82, v33, v57, v82 op_sel:[0,1,0]
	ds_read2_b64 v[30:33], v20 offset1:32
	s_waitcnt lgkmcnt(1)
	v_pk_fma_f16 v83, v68, v57, v83 op_sel_hi:[1,0,1]
	v_pk_fma_f16 v55, v68, v57, v55 op_sel:[0,1,0]
	v_pk_fma_f16 v84, v69, v57, v84 op_sel_hi:[1,0,1]
	v_pk_fma_f16 v85, v69, v57, v85 op_sel:[0,1,0]
	v_pk_fma_f16 v86, v70, v57, v86 op_sel_hi:[1,0,1]
	v_pk_fma_f16 v87, v70, v57, v87 op_sel:[0,1,0]
	v_pk_fma_f16 v60, v71, v57, v60 op_sel_hi:[1,0,1]
	v_pk_fma_f16 v56, v71, v57, v56 op_sel:[0,1,0]
	ds_read2_b64 v[68:71], v20 offset0:64 offset1:96
	s_waitcnt lgkmcnt(1)
	v_pk_fma_f16 v57, v30, v58, v61 op_sel_hi:[1,0,1]
	v_pk_fma_f16 v61, v30, v58, v76 op_sel:[0,1,0]
	v_pk_fma_f16 v76, v31, v58, v77 op_sel_hi:[1,0,1]
	v_pk_fma_f16 v77, v31, v58, v78 op_sel:[0,1,0]
	v_pk_fma_f16 v78, v32, v58, v79 op_sel_hi:[1,0,1]
	v_pk_fma_f16 v79, v32, v58, v80 op_sel:[0,1,0]
	v_pk_fma_f16 v80, v33, v58, v81 op_sel_hi:[1,0,1]
	v_pk_fma_f16 v81, v33, v58, v82 op_sel:[0,1,0]
	ds_read2_b64 v[30:33], v20 offset0:128 offset1:160
	s_waitcnt lgkmcnt(1)
	v_pk_fma_f16 v82, v68, v58, v83 op_sel_hi:[1,0,1]
	v_pk_fma_f16 v55, v68, v58, v55 op_sel:[0,1,0]
	v_pk_fma_f16 v83, v69, v58, v84 op_sel_hi:[1,0,1]
	v_pk_fma_f16 v84, v69, v58, v85 op_sel:[0,1,0]
	v_pk_fma_f16 v85, v70, v58, v86 op_sel_hi:[1,0,1]
	v_pk_fma_f16 v86, v70, v58, v87 op_sel:[0,1,0]
	v_pk_fma_f16 v60, v71, v58, v60 op_sel_hi:[1,0,1]
	v_pk_fma_f16 v56, v71, v58, v56 op_sel:[0,1,0]
	ds_read2_b64 v[68:71], v20 offset0:192 offset1:224
	s_waitcnt lgkmcnt(1)
	v_pk_fma_f16 v87, v30, v59, v57 op_sel_hi:[1,0,1]
	v_pk_fma_f16 v61, v30, v59, v61 op_sel:[0,1,0]
	v_pk_fma_f16 v76, v31, v59, v76 op_sel_hi:[1,0,1]
	v_pk_fma_f16 v77, v31, v59, v77 op_sel:[0,1,0]
	v_pk_fma_f16 v78, v32, v59, v78 op_sel_hi:[1,0,1]
	v_pk_fma_f16 v79, v32, v59, v79 op_sel:[0,1,0]
	v_pk_fma_f16 v80, v33, v59, v80 op_sel_hi:[1,0,1]
	v_pk_fma_f16 v81, v33, v59, v81 op_sel:[0,1,0]
	ds_read2_b64 v[30:33], v24 offset1:32
	s_waitcnt lgkmcnt(1)
	v_pk_fma_f16 v82, v68, v59, v82 op_sel_hi:[1,0,1]
	v_pk_fma_f16 v55, v68, v59, v55 op_sel:[0,1,0]
	v_pk_fma_f16 v68, v69, v59, v83 op_sel_hi:[1,0,1]
	v_pk_fma_f16 v69, v69, v59, v84 op_sel:[0,1,0]
	v_pk_fma_f16 v83, v70, v59, v85 op_sel_hi:[1,0,1]
	v_pk_fma_f16 v70, v70, v59, v86 op_sel:[0,1,0]
	v_pk_fma_f16 v60, v71, v59, v60 op_sel_hi:[1,0,1]
	v_pk_fma_f16 v71, v71, v59, v56 op_sel:[0,1,0]
	ds_read2_b64 v[56:59], v24 offset0:64 offset1:96
	;; [unrolled: 40-line block ×5, first 2 shown]
	s_waitcnt lgkmcnt(1)
	v_pk_fma_f16 v5, v30, v6, v71 op_sel_hi:[1,0,1]
	v_pk_fma_f16 v61, v30, v6, v61 op_sel:[0,1,0]
	v_pk_fma_f16 v108, v31, v6, v72 op_sel_hi:[1,0,1]
	v_pk_fma_f16 v109, v31, v6, v73 op_sel:[0,1,0]
	;; [unrolled: 2-line block ×4, first 2 shown]
	ds_read2_b64 v[30:33], v28 offset0:128 offset1:160
	s_or_b32 s10, s6, 48
	s_mul_hi_i32 s11, s10, s14
	s_mul_i32 s10, s10, s14
	s_lshl_b64 s[10:11], s[10:11], 2
	s_waitcnt lgkmcnt(1)
	v_pk_fma_f16 v114, v56, v6, v78 op_sel_hi:[1,0,1]
	v_pk_fma_f16 v55, v56, v6, v55 op_sel:[0,1,0]
	v_pk_fma_f16 v115, v57, v6, v68 op_sel_hi:[1,0,1]
	v_pk_fma_f16 v116, v57, v6, v69 op_sel:[0,1,0]
	;; [unrolled: 2-line block ×4, first 2 shown]
	s_waitcnt lgkmcnt(0)
	v_pk_fma_f16 v119, v30, v7, v5 op_sel_hi:[1,0,1]
	v_mov_b32_e32 v5, s11
	v_add_co_u32_e32 v4, vcc, s10, v48
	v_addc_co_u32_e32 v5, vcc, v49, v5, vcc
	ds_read2_b64 v[56:59], v28 offset0:192 offset1:224
	ds_read2_b64 v[68:71], v29 offset1:32
	ds_read2_b64 v[72:75], v29 offset0:64 offset1:96
	ds_read2_b64 v[76:79], v29 offset0:128 offset1:160
	;; [unrolled: 1-line block ×3, first 2 shown]
	ds_read2_b64 v[84:87], v22 offset1:32
	ds_read2_b64 v[88:91], v22 offset0:64 offset1:96
	ds_read2_b64 v[92:95], v22 offset0:128 offset1:160
	ds_read2_b64 v[96:99], v22 offset0:192 offset1:224
	s_waitcnt lgkmcnt(0)
	s_barrier
	global_load_dwordx4 v[100:103], v[4:5], off
	global_load_dwordx4 v[104:107], v[4:5], off offset:512
	v_pk_fma_f16 v30, v30, v7, v61 op_sel:[0,1,0]
	v_pk_fma_f16 v4, v31, v7, v108 op_sel_hi:[1,0,1]
	v_pk_fma_f16 v5, v31, v7, v109 op_sel:[0,1,0]
	v_pk_fma_f16 v31, v32, v7, v110 op_sel_hi:[1,0,1]
	;; [unrolled: 2-line block ×39, first 2 shown]
	v_pk_fma_f16 v88, v99, v3, v0 op_sel:[0,1,0]
	s_waitcnt vmcnt(1)
	ds_write_b128 v45, v[100:103]
	s_waitcnt vmcnt(0)
	ds_write_b128 v46, v[104:107]
	s_waitcnt lgkmcnt(0)
	s_barrier
	ds_read2_b64 v[30:33], v47 offset1:32
	ds_read_b128 v[56:59], v44 offset:192
	ds_read2_b64 v[68:71], v47 offset0:64 offset1:96
	ds_read_b128 v[72:75], v44 offset:208
	ds_read_b128 v[4:7], v44 offset:224
	;; [unrolled: 1-line block ×3, first 2 shown]
	s_waitcnt lgkmcnt(4)
	v_pk_fma_f16 v61, v30, v56, v61 op_sel_hi:[1,0,1]
	v_pk_fma_f16 v76, v30, v56, v76 op_sel:[0,1,0]
	v_pk_fma_f16 v77, v31, v56, v77 op_sel_hi:[1,0,1]
	v_pk_fma_f16 v78, v31, v56, v78 op_sel:[0,1,0]
	v_pk_fma_f16 v79, v32, v56, v79 op_sel_hi:[1,0,1]
	v_pk_fma_f16 v80, v32, v56, v80 op_sel:[0,1,0]
	v_pk_fma_f16 v81, v33, v56, v81 op_sel_hi:[1,0,1]
	v_pk_fma_f16 v82, v33, v56, v82 op_sel:[0,1,0]
	ds_read2_b64 v[30:33], v47 offset0:128 offset1:160
	s_waitcnt lgkmcnt(4)
	v_pk_fma_f16 v83, v68, v56, v83 op_sel_hi:[1,0,1]
	v_pk_fma_f16 v55, v68, v56, v55 op_sel:[0,1,0]
	v_pk_fma_f16 v84, v69, v56, v84 op_sel_hi:[1,0,1]
	v_pk_fma_f16 v85, v69, v56, v85 op_sel:[0,1,0]
	v_pk_fma_f16 v86, v70, v56, v86 op_sel_hi:[1,0,1]
	v_pk_fma_f16 v87, v70, v56, v87 op_sel:[0,1,0]
	v_pk_fma_f16 v60, v71, v56, v60 op_sel_hi:[1,0,1]
	v_pk_fma_f16 v56, v71, v56, v88 op_sel:[0,1,0]
	ds_read2_b64 v[68:71], v47 offset0:192 offset1:224
	s_waitcnt lgkmcnt(1)
	v_pk_fma_f16 v61, v30, v57, v61 op_sel_hi:[1,0,1]
	v_pk_fma_f16 v76, v30, v57, v76 op_sel:[0,1,0]
	v_pk_fma_f16 v77, v31, v57, v77 op_sel_hi:[1,0,1]
	v_pk_fma_f16 v78, v31, v57, v78 op_sel:[0,1,0]
	v_pk_fma_f16 v79, v32, v57, v79 op_sel_hi:[1,0,1]
	v_pk_fma_f16 v80, v32, v57, v80 op_sel:[0,1,0]
	v_pk_fma_f16 v81, v33, v57, v81 op_sel_hi:[1,0,1]
	v_pk_fma_f16 v82, v33, v57, v82 op_sel:[0,1,0]
	ds_read2_b64 v[30:33], v20 offset1:32
	s_waitcnt lgkmcnt(1)
	v_pk_fma_f16 v83, v68, v57, v83 op_sel_hi:[1,0,1]
	v_pk_fma_f16 v55, v68, v57, v55 op_sel:[0,1,0]
	v_pk_fma_f16 v84, v69, v57, v84 op_sel_hi:[1,0,1]
	v_pk_fma_f16 v85, v69, v57, v85 op_sel:[0,1,0]
	v_pk_fma_f16 v86, v70, v57, v86 op_sel_hi:[1,0,1]
	v_pk_fma_f16 v87, v70, v57, v87 op_sel:[0,1,0]
	v_pk_fma_f16 v60, v71, v57, v60 op_sel_hi:[1,0,1]
	v_pk_fma_f16 v56, v71, v57, v56 op_sel:[0,1,0]
	ds_read2_b64 v[68:71], v20 offset0:64 offset1:96
	s_waitcnt lgkmcnt(1)
	v_pk_fma_f16 v57, v30, v58, v61 op_sel_hi:[1,0,1]
	v_pk_fma_f16 v61, v30, v58, v76 op_sel:[0,1,0]
	v_pk_fma_f16 v76, v31, v58, v77 op_sel_hi:[1,0,1]
	v_pk_fma_f16 v77, v31, v58, v78 op_sel:[0,1,0]
	v_pk_fma_f16 v78, v32, v58, v79 op_sel_hi:[1,0,1]
	v_pk_fma_f16 v79, v32, v58, v80 op_sel:[0,1,0]
	v_pk_fma_f16 v80, v33, v58, v81 op_sel_hi:[1,0,1]
	v_pk_fma_f16 v81, v33, v58, v82 op_sel:[0,1,0]
	ds_read2_b64 v[30:33], v20 offset0:128 offset1:160
	s_waitcnt lgkmcnt(1)
	v_pk_fma_f16 v82, v68, v58, v83 op_sel_hi:[1,0,1]
	v_pk_fma_f16 v55, v68, v58, v55 op_sel:[0,1,0]
	v_pk_fma_f16 v83, v69, v58, v84 op_sel_hi:[1,0,1]
	v_pk_fma_f16 v84, v69, v58, v85 op_sel:[0,1,0]
	v_pk_fma_f16 v85, v70, v58, v86 op_sel_hi:[1,0,1]
	v_pk_fma_f16 v86, v70, v58, v87 op_sel:[0,1,0]
	v_pk_fma_f16 v60, v71, v58, v60 op_sel_hi:[1,0,1]
	v_pk_fma_f16 v56, v71, v58, v56 op_sel:[0,1,0]
	ds_read2_b64 v[68:71], v20 offset0:192 offset1:224
	s_waitcnt lgkmcnt(1)
	v_pk_fma_f16 v87, v30, v59, v57 op_sel_hi:[1,0,1]
	v_pk_fma_f16 v61, v30, v59, v61 op_sel:[0,1,0]
	v_pk_fma_f16 v76, v31, v59, v76 op_sel_hi:[1,0,1]
	v_pk_fma_f16 v77, v31, v59, v77 op_sel:[0,1,0]
	v_pk_fma_f16 v78, v32, v59, v78 op_sel_hi:[1,0,1]
	v_pk_fma_f16 v79, v32, v59, v79 op_sel:[0,1,0]
	v_pk_fma_f16 v80, v33, v59, v80 op_sel_hi:[1,0,1]
	v_pk_fma_f16 v81, v33, v59, v81 op_sel:[0,1,0]
	ds_read2_b64 v[30:33], v24 offset1:32
	s_waitcnt lgkmcnt(1)
	v_pk_fma_f16 v82, v68, v59, v82 op_sel_hi:[1,0,1]
	v_pk_fma_f16 v55, v68, v59, v55 op_sel:[0,1,0]
	v_pk_fma_f16 v68, v69, v59, v83 op_sel_hi:[1,0,1]
	v_pk_fma_f16 v69, v69, v59, v84 op_sel:[0,1,0]
	v_pk_fma_f16 v83, v70, v59, v85 op_sel_hi:[1,0,1]
	v_pk_fma_f16 v70, v70, v59, v86 op_sel:[0,1,0]
	v_pk_fma_f16 v60, v71, v59, v60 op_sel_hi:[1,0,1]
	v_pk_fma_f16 v71, v71, v59, v56 op_sel:[0,1,0]
	ds_read2_b64 v[56:59], v24 offset0:64 offset1:96
	;; [unrolled: 40-line block ×5, first 2 shown]
	s_waitcnt lgkmcnt(1)
	v_pk_fma_f16 v5, v30, v6, v71 op_sel_hi:[1,0,1]
	v_pk_fma_f16 v61, v30, v6, v61 op_sel:[0,1,0]
	v_pk_fma_f16 v108, v31, v6, v72 op_sel_hi:[1,0,1]
	v_pk_fma_f16 v109, v31, v6, v73 op_sel:[0,1,0]
	v_pk_fma_f16 v110, v32, v6, v74 op_sel_hi:[1,0,1]
	v_pk_fma_f16 v111, v32, v6, v75 op_sel:[0,1,0]
	v_pk_fma_f16 v112, v33, v6, v76 op_sel_hi:[1,0,1]
	v_pk_fma_f16 v113, v33, v6, v77 op_sel:[0,1,0]
	ds_read2_b64 v[30:33], v28 offset0:128 offset1:160
	s_or_b32 s10, s6, 64
	s_mul_hi_i32 s11, s10, s14
	s_mul_i32 s10, s10, s14
	s_lshl_b64 s[10:11], s[10:11], 2
	s_waitcnt lgkmcnt(1)
	v_pk_fma_f16 v114, v56, v6, v78 op_sel_hi:[1,0,1]
	v_pk_fma_f16 v55, v56, v6, v55 op_sel:[0,1,0]
	v_pk_fma_f16 v115, v57, v6, v68 op_sel_hi:[1,0,1]
	v_pk_fma_f16 v116, v57, v6, v69 op_sel:[0,1,0]
	;; [unrolled: 2-line block ×4, first 2 shown]
	s_waitcnt lgkmcnt(0)
	v_pk_fma_f16 v119, v30, v7, v5 op_sel_hi:[1,0,1]
	v_mov_b32_e32 v5, s11
	v_add_co_u32_e32 v4, vcc, s10, v48
	v_addc_co_u32_e32 v5, vcc, v49, v5, vcc
	ds_read2_b64 v[56:59], v28 offset0:192 offset1:224
	ds_read2_b64 v[68:71], v29 offset1:32
	ds_read2_b64 v[72:75], v29 offset0:64 offset1:96
	ds_read2_b64 v[76:79], v29 offset0:128 offset1:160
	;; [unrolled: 1-line block ×3, first 2 shown]
	ds_read2_b64 v[84:87], v22 offset1:32
	ds_read2_b64 v[88:91], v22 offset0:64 offset1:96
	ds_read2_b64 v[92:95], v22 offset0:128 offset1:160
	;; [unrolled: 1-line block ×3, first 2 shown]
	s_waitcnt lgkmcnt(0)
	s_barrier
	global_load_dwordx4 v[100:103], v[4:5], off
	global_load_dwordx4 v[104:107], v[4:5], off offset:512
	v_pk_fma_f16 v30, v30, v7, v61 op_sel:[0,1,0]
	v_pk_fma_f16 v4, v31, v7, v108 op_sel_hi:[1,0,1]
	v_pk_fma_f16 v5, v31, v7, v109 op_sel:[0,1,0]
	v_pk_fma_f16 v31, v32, v7, v110 op_sel_hi:[1,0,1]
	v_pk_fma_f16 v32, v32, v7, v111 op_sel:[0,1,0]
	v_pk_fma_f16 v61, v33, v7, v112 op_sel_hi:[1,0,1]
	v_pk_fma_f16 v33, v33, v7, v113 op_sel:[0,1,0]
	v_pk_fma_f16 v108, v56, v7, v114 op_sel_hi:[1,0,1]
	v_pk_fma_f16 v55, v56, v7, v55 op_sel:[0,1,0]
	v_pk_fma_f16 v56, v57, v7, v115 op_sel_hi:[1,0,1]
	v_pk_fma_f16 v57, v57, v7, v116 op_sel:[0,1,0]
	v_pk_fma_f16 v109, v58, v7, v117 op_sel_hi:[1,0,1]
	v_pk_fma_f16 v58, v58, v7, v118 op_sel:[0,1,0]
	v_pk_fma_f16 v60, v59, v7, v60 op_sel_hi:[1,0,1]
	v_pk_fma_f16 v6, v59, v7, v6 op_sel:[0,1,0]
	v_pk_fma_f16 v7, v68, v0, v119 op_sel_hi:[1,0,1]
	v_pk_fma_f16 v30, v68, v0, v30 op_sel:[0,1,0]
	v_pk_fma_f16 v4, v69, v0, v4 op_sel_hi:[1,0,1]
	v_pk_fma_f16 v5, v69, v0, v5 op_sel:[0,1,0]
	v_pk_fma_f16 v31, v70, v0, v31 op_sel_hi:[1,0,1]
	v_pk_fma_f16 v32, v70, v0, v32 op_sel:[0,1,0]
	v_pk_fma_f16 v59, v71, v0, v61 op_sel_hi:[1,0,1]
	v_pk_fma_f16 v33, v71, v0, v33 op_sel:[0,1,0]
	v_pk_fma_f16 v61, v72, v0, v108 op_sel_hi:[1,0,1]
	v_pk_fma_f16 v55, v72, v0, v55 op_sel:[0,1,0]
	v_pk_fma_f16 v56, v73, v0, v56 op_sel_hi:[1,0,1]
	v_pk_fma_f16 v57, v73, v0, v57 op_sel:[0,1,0]
	v_pk_fma_f16 v68, v74, v0, v109 op_sel_hi:[1,0,1]
	v_pk_fma_f16 v58, v74, v0, v58 op_sel:[0,1,0]
	v_pk_fma_f16 v60, v75, v0, v60 op_sel_hi:[1,0,1]
	v_pk_fma_f16 v0, v75, v0, v6 op_sel:[0,1,0]
	v_pk_fma_f16 v6, v76, v1, v7 op_sel_hi:[1,0,1]
	v_pk_fma_f16 v7, v76, v1, v30 op_sel:[0,1,0]
	v_pk_fma_f16 v4, v77, v1, v4 op_sel_hi:[1,0,1]
	v_pk_fma_f16 v5, v77, v1, v5 op_sel:[0,1,0]
	v_pk_fma_f16 v30, v78, v1, v31 op_sel_hi:[1,0,1]
	v_pk_fma_f16 v31, v78, v1, v32 op_sel:[0,1,0]
	v_pk_fma_f16 v32, v79, v1, v59 op_sel_hi:[1,0,1]
	v_pk_fma_f16 v33, v79, v1, v33 op_sel:[0,1,0]
	v_pk_fma_f16 v59, v80, v1, v61 op_sel_hi:[1,0,1]
	v_pk_fma_f16 v55, v80, v1, v55 op_sel:[0,1,0]
	v_pk_fma_f16 v56, v81, v1, v56 op_sel_hi:[1,0,1]
	v_pk_fma_f16 v57, v81, v1, v57 op_sel:[0,1,0]
	v_pk_fma_f16 v61, v82, v1, v68 op_sel_hi:[1,0,1]
	v_pk_fma_f16 v58, v82, v1, v58 op_sel:[0,1,0]
	v_pk_fma_f16 v60, v83, v1, v60 op_sel_hi:[1,0,1]
	v_pk_fma_f16 v0, v83, v1, v0 op_sel:[0,1,0]
	v_pk_fma_f16 v1, v84, v2, v6 op_sel_hi:[1,0,1]
	v_pk_fma_f16 v6, v84, v2, v7 op_sel:[0,1,0]
	v_pk_fma_f16 v4, v85, v2, v4 op_sel_hi:[1,0,1]
	v_pk_fma_f16 v5, v85, v2, v5 op_sel:[0,1,0]
	v_pk_fma_f16 v7, v86, v2, v30 op_sel_hi:[1,0,1]
	v_pk_fma_f16 v30, v86, v2, v31 op_sel:[0,1,0]
	v_pk_fma_f16 v31, v87, v2, v32 op_sel_hi:[1,0,1]
	v_pk_fma_f16 v32, v87, v2, v33 op_sel:[0,1,0]
	v_pk_fma_f16 v33, v88, v2, v59 op_sel_hi:[1,0,1]
	v_pk_fma_f16 v55, v88, v2, v55 op_sel:[0,1,0]
	v_pk_fma_f16 v56, v89, v2, v56 op_sel_hi:[1,0,1]
	v_pk_fma_f16 v57, v89, v2, v57 op_sel:[0,1,0]
	v_pk_fma_f16 v59, v90, v2, v61 op_sel_hi:[1,0,1]
	v_pk_fma_f16 v58, v90, v2, v58 op_sel:[0,1,0]
	v_pk_fma_f16 v60, v91, v2, v60 op_sel_hi:[1,0,1]
	v_pk_fma_f16 v0, v91, v2, v0 op_sel:[0,1,0]
	v_pk_fma_f16 v61, v92, v3, v1 op_sel_hi:[1,0,1]
	v_pk_fma_f16 v76, v92, v3, v6 op_sel:[0,1,0]
	v_pk_fma_f16 v77, v93, v3, v4 op_sel_hi:[1,0,1]
	v_pk_fma_f16 v78, v93, v3, v5 op_sel:[0,1,0]
	v_pk_fma_f16 v79, v94, v3, v7 op_sel_hi:[1,0,1]
	v_pk_fma_f16 v80, v94, v3, v30 op_sel:[0,1,0]
	v_pk_fma_f16 v81, v95, v3, v31 op_sel_hi:[1,0,1]
	v_pk_fma_f16 v82, v95, v3, v32 op_sel:[0,1,0]
	v_pk_fma_f16 v83, v96, v3, v33 op_sel_hi:[1,0,1]
	v_pk_fma_f16 v55, v96, v3, v55 op_sel:[0,1,0]
	v_pk_fma_f16 v84, v97, v3, v56 op_sel_hi:[1,0,1]
	v_pk_fma_f16 v85, v97, v3, v57 op_sel:[0,1,0]
	v_pk_fma_f16 v86, v98, v3, v59 op_sel_hi:[1,0,1]
	v_pk_fma_f16 v87, v98, v3, v58 op_sel:[0,1,0]
	v_pk_fma_f16 v60, v99, v3, v60 op_sel_hi:[1,0,1]
	v_pk_fma_f16 v88, v99, v3, v0 op_sel:[0,1,0]
	s_waitcnt vmcnt(1)
	ds_write_b128 v45, v[100:103]
	s_waitcnt vmcnt(0)
	ds_write_b128 v46, v[104:107]
	s_waitcnt lgkmcnt(0)
	s_barrier
	ds_read2_b64 v[30:33], v47 offset1:32
	ds_read_b128 v[56:59], v44 offset:256
	ds_read2_b64 v[68:71], v47 offset0:64 offset1:96
	ds_read_b128 v[72:75], v44 offset:272
	ds_read_b128 v[4:7], v44 offset:288
	;; [unrolled: 1-line block ×3, first 2 shown]
	s_waitcnt lgkmcnt(4)
	v_pk_fma_f16 v61, v30, v56, v61 op_sel_hi:[1,0,1]
	v_pk_fma_f16 v76, v30, v56, v76 op_sel:[0,1,0]
	v_pk_fma_f16 v77, v31, v56, v77 op_sel_hi:[1,0,1]
	v_pk_fma_f16 v78, v31, v56, v78 op_sel:[0,1,0]
	v_pk_fma_f16 v79, v32, v56, v79 op_sel_hi:[1,0,1]
	v_pk_fma_f16 v80, v32, v56, v80 op_sel:[0,1,0]
	v_pk_fma_f16 v81, v33, v56, v81 op_sel_hi:[1,0,1]
	v_pk_fma_f16 v82, v33, v56, v82 op_sel:[0,1,0]
	ds_read2_b64 v[30:33], v47 offset0:128 offset1:160
	s_waitcnt lgkmcnt(4)
	v_pk_fma_f16 v83, v68, v56, v83 op_sel_hi:[1,0,1]
	v_pk_fma_f16 v55, v68, v56, v55 op_sel:[0,1,0]
	v_pk_fma_f16 v84, v69, v56, v84 op_sel_hi:[1,0,1]
	v_pk_fma_f16 v85, v69, v56, v85 op_sel:[0,1,0]
	v_pk_fma_f16 v86, v70, v56, v86 op_sel_hi:[1,0,1]
	v_pk_fma_f16 v87, v70, v56, v87 op_sel:[0,1,0]
	v_pk_fma_f16 v60, v71, v56, v60 op_sel_hi:[1,0,1]
	v_pk_fma_f16 v56, v71, v56, v88 op_sel:[0,1,0]
	ds_read2_b64 v[68:71], v47 offset0:192 offset1:224
	s_waitcnt lgkmcnt(1)
	v_pk_fma_f16 v61, v30, v57, v61 op_sel_hi:[1,0,1]
	v_pk_fma_f16 v76, v30, v57, v76 op_sel:[0,1,0]
	v_pk_fma_f16 v77, v31, v57, v77 op_sel_hi:[1,0,1]
	v_pk_fma_f16 v78, v31, v57, v78 op_sel:[0,1,0]
	v_pk_fma_f16 v79, v32, v57, v79 op_sel_hi:[1,0,1]
	v_pk_fma_f16 v80, v32, v57, v80 op_sel:[0,1,0]
	v_pk_fma_f16 v81, v33, v57, v81 op_sel_hi:[1,0,1]
	v_pk_fma_f16 v82, v33, v57, v82 op_sel:[0,1,0]
	ds_read2_b64 v[30:33], v20 offset1:32
	s_waitcnt lgkmcnt(1)
	v_pk_fma_f16 v83, v68, v57, v83 op_sel_hi:[1,0,1]
	v_pk_fma_f16 v55, v68, v57, v55 op_sel:[0,1,0]
	v_pk_fma_f16 v84, v69, v57, v84 op_sel_hi:[1,0,1]
	v_pk_fma_f16 v85, v69, v57, v85 op_sel:[0,1,0]
	v_pk_fma_f16 v86, v70, v57, v86 op_sel_hi:[1,0,1]
	v_pk_fma_f16 v87, v70, v57, v87 op_sel:[0,1,0]
	v_pk_fma_f16 v60, v71, v57, v60 op_sel_hi:[1,0,1]
	v_pk_fma_f16 v56, v71, v57, v56 op_sel:[0,1,0]
	ds_read2_b64 v[68:71], v20 offset0:64 offset1:96
	s_waitcnt lgkmcnt(1)
	v_pk_fma_f16 v57, v30, v58, v61 op_sel_hi:[1,0,1]
	v_pk_fma_f16 v61, v30, v58, v76 op_sel:[0,1,0]
	v_pk_fma_f16 v76, v31, v58, v77 op_sel_hi:[1,0,1]
	v_pk_fma_f16 v77, v31, v58, v78 op_sel:[0,1,0]
	v_pk_fma_f16 v78, v32, v58, v79 op_sel_hi:[1,0,1]
	v_pk_fma_f16 v79, v32, v58, v80 op_sel:[0,1,0]
	v_pk_fma_f16 v80, v33, v58, v81 op_sel_hi:[1,0,1]
	v_pk_fma_f16 v81, v33, v58, v82 op_sel:[0,1,0]
	ds_read2_b64 v[30:33], v20 offset0:128 offset1:160
	s_waitcnt lgkmcnt(1)
	v_pk_fma_f16 v82, v68, v58, v83 op_sel_hi:[1,0,1]
	v_pk_fma_f16 v55, v68, v58, v55 op_sel:[0,1,0]
	v_pk_fma_f16 v83, v69, v58, v84 op_sel_hi:[1,0,1]
	v_pk_fma_f16 v84, v69, v58, v85 op_sel:[0,1,0]
	v_pk_fma_f16 v85, v70, v58, v86 op_sel_hi:[1,0,1]
	v_pk_fma_f16 v86, v70, v58, v87 op_sel:[0,1,0]
	v_pk_fma_f16 v60, v71, v58, v60 op_sel_hi:[1,0,1]
	v_pk_fma_f16 v56, v71, v58, v56 op_sel:[0,1,0]
	ds_read2_b64 v[68:71], v20 offset0:192 offset1:224
	s_waitcnt lgkmcnt(1)
	v_pk_fma_f16 v87, v30, v59, v57 op_sel_hi:[1,0,1]
	v_pk_fma_f16 v61, v30, v59, v61 op_sel:[0,1,0]
	v_pk_fma_f16 v76, v31, v59, v76 op_sel_hi:[1,0,1]
	v_pk_fma_f16 v77, v31, v59, v77 op_sel:[0,1,0]
	v_pk_fma_f16 v78, v32, v59, v78 op_sel_hi:[1,0,1]
	v_pk_fma_f16 v79, v32, v59, v79 op_sel:[0,1,0]
	v_pk_fma_f16 v80, v33, v59, v80 op_sel_hi:[1,0,1]
	v_pk_fma_f16 v81, v33, v59, v81 op_sel:[0,1,0]
	ds_read2_b64 v[30:33], v24 offset1:32
	s_waitcnt lgkmcnt(1)
	v_pk_fma_f16 v82, v68, v59, v82 op_sel_hi:[1,0,1]
	v_pk_fma_f16 v55, v68, v59, v55 op_sel:[0,1,0]
	v_pk_fma_f16 v68, v69, v59, v83 op_sel_hi:[1,0,1]
	v_pk_fma_f16 v69, v69, v59, v84 op_sel:[0,1,0]
	v_pk_fma_f16 v83, v70, v59, v85 op_sel_hi:[1,0,1]
	v_pk_fma_f16 v70, v70, v59, v86 op_sel:[0,1,0]
	v_pk_fma_f16 v60, v71, v59, v60 op_sel_hi:[1,0,1]
	v_pk_fma_f16 v71, v71, v59, v56 op_sel:[0,1,0]
	ds_read2_b64 v[56:59], v24 offset0:64 offset1:96
	;; [unrolled: 40-line block ×5, first 2 shown]
	s_waitcnt lgkmcnt(1)
	v_pk_fma_f16 v5, v30, v6, v71 op_sel_hi:[1,0,1]
	v_pk_fma_f16 v61, v30, v6, v61 op_sel:[0,1,0]
	v_pk_fma_f16 v108, v31, v6, v72 op_sel_hi:[1,0,1]
	v_pk_fma_f16 v109, v31, v6, v73 op_sel:[0,1,0]
	;; [unrolled: 2-line block ×4, first 2 shown]
	ds_read2_b64 v[30:33], v28 offset0:128 offset1:160
	s_or_b32 s10, s6, 0x50
	s_mul_hi_i32 s11, s10, s14
	s_mul_i32 s10, s10, s14
	s_lshl_b64 s[10:11], s[10:11], 2
	s_waitcnt lgkmcnt(1)
	v_pk_fma_f16 v114, v56, v6, v78 op_sel_hi:[1,0,1]
	v_pk_fma_f16 v55, v56, v6, v55 op_sel:[0,1,0]
	v_pk_fma_f16 v115, v57, v6, v68 op_sel_hi:[1,0,1]
	v_pk_fma_f16 v116, v57, v6, v69 op_sel:[0,1,0]
	;; [unrolled: 2-line block ×4, first 2 shown]
	s_waitcnt lgkmcnt(0)
	v_pk_fma_f16 v119, v30, v7, v5 op_sel_hi:[1,0,1]
	v_mov_b32_e32 v5, s11
	v_add_co_u32_e32 v4, vcc, s10, v48
	v_addc_co_u32_e32 v5, vcc, v49, v5, vcc
	ds_read2_b64 v[56:59], v28 offset0:192 offset1:224
	ds_read2_b64 v[68:71], v29 offset1:32
	ds_read2_b64 v[72:75], v29 offset0:64 offset1:96
	ds_read2_b64 v[76:79], v29 offset0:128 offset1:160
	;; [unrolled: 1-line block ×3, first 2 shown]
	ds_read2_b64 v[84:87], v22 offset1:32
	ds_read2_b64 v[88:91], v22 offset0:64 offset1:96
	ds_read2_b64 v[92:95], v22 offset0:128 offset1:160
	;; [unrolled: 1-line block ×3, first 2 shown]
	s_waitcnt lgkmcnt(0)
	s_barrier
	global_load_dwordx4 v[100:103], v[4:5], off
	global_load_dwordx4 v[104:107], v[4:5], off offset:512
	v_pk_fma_f16 v30, v30, v7, v61 op_sel:[0,1,0]
	v_pk_fma_f16 v4, v31, v7, v108 op_sel_hi:[1,0,1]
	v_pk_fma_f16 v5, v31, v7, v109 op_sel:[0,1,0]
	v_pk_fma_f16 v31, v32, v7, v110 op_sel_hi:[1,0,1]
	;; [unrolled: 2-line block ×39, first 2 shown]
	v_pk_fma_f16 v88, v99, v3, v0 op_sel:[0,1,0]
	s_waitcnt vmcnt(1)
	ds_write_b128 v45, v[100:103]
	s_waitcnt vmcnt(0)
	ds_write_b128 v46, v[104:107]
	s_waitcnt lgkmcnt(0)
	s_barrier
	ds_read2_b64 v[30:33], v47 offset1:32
	ds_read_b128 v[56:59], v44 offset:320
	ds_read2_b64 v[68:71], v47 offset0:64 offset1:96
	ds_read_b128 v[72:75], v44 offset:336
	ds_read_b128 v[4:7], v44 offset:352
	;; [unrolled: 1-line block ×3, first 2 shown]
	s_waitcnt lgkmcnt(4)
	v_pk_fma_f16 v61, v30, v56, v61 op_sel_hi:[1,0,1]
	v_pk_fma_f16 v76, v30, v56, v76 op_sel:[0,1,0]
	v_pk_fma_f16 v77, v31, v56, v77 op_sel_hi:[1,0,1]
	v_pk_fma_f16 v78, v31, v56, v78 op_sel:[0,1,0]
	v_pk_fma_f16 v79, v32, v56, v79 op_sel_hi:[1,0,1]
	v_pk_fma_f16 v80, v32, v56, v80 op_sel:[0,1,0]
	v_pk_fma_f16 v81, v33, v56, v81 op_sel_hi:[1,0,1]
	v_pk_fma_f16 v82, v33, v56, v82 op_sel:[0,1,0]
	ds_read2_b64 v[30:33], v47 offset0:128 offset1:160
	s_waitcnt lgkmcnt(4)
	v_pk_fma_f16 v83, v68, v56, v83 op_sel_hi:[1,0,1]
	v_pk_fma_f16 v55, v68, v56, v55 op_sel:[0,1,0]
	v_pk_fma_f16 v84, v69, v56, v84 op_sel_hi:[1,0,1]
	v_pk_fma_f16 v85, v69, v56, v85 op_sel:[0,1,0]
	v_pk_fma_f16 v86, v70, v56, v86 op_sel_hi:[1,0,1]
	v_pk_fma_f16 v87, v70, v56, v87 op_sel:[0,1,0]
	v_pk_fma_f16 v60, v71, v56, v60 op_sel_hi:[1,0,1]
	v_pk_fma_f16 v56, v71, v56, v88 op_sel:[0,1,0]
	ds_read2_b64 v[68:71], v47 offset0:192 offset1:224
	s_waitcnt lgkmcnt(1)
	v_pk_fma_f16 v61, v30, v57, v61 op_sel_hi:[1,0,1]
	v_pk_fma_f16 v76, v30, v57, v76 op_sel:[0,1,0]
	v_pk_fma_f16 v77, v31, v57, v77 op_sel_hi:[1,0,1]
	v_pk_fma_f16 v78, v31, v57, v78 op_sel:[0,1,0]
	v_pk_fma_f16 v79, v32, v57, v79 op_sel_hi:[1,0,1]
	v_pk_fma_f16 v80, v32, v57, v80 op_sel:[0,1,0]
	v_pk_fma_f16 v81, v33, v57, v81 op_sel_hi:[1,0,1]
	v_pk_fma_f16 v82, v33, v57, v82 op_sel:[0,1,0]
	ds_read2_b64 v[30:33], v20 offset1:32
	s_waitcnt lgkmcnt(1)
	v_pk_fma_f16 v83, v68, v57, v83 op_sel_hi:[1,0,1]
	v_pk_fma_f16 v55, v68, v57, v55 op_sel:[0,1,0]
	v_pk_fma_f16 v84, v69, v57, v84 op_sel_hi:[1,0,1]
	v_pk_fma_f16 v85, v69, v57, v85 op_sel:[0,1,0]
	v_pk_fma_f16 v86, v70, v57, v86 op_sel_hi:[1,0,1]
	v_pk_fma_f16 v87, v70, v57, v87 op_sel:[0,1,0]
	v_pk_fma_f16 v60, v71, v57, v60 op_sel_hi:[1,0,1]
	v_pk_fma_f16 v56, v71, v57, v56 op_sel:[0,1,0]
	ds_read2_b64 v[68:71], v20 offset0:64 offset1:96
	s_waitcnt lgkmcnt(1)
	v_pk_fma_f16 v57, v30, v58, v61 op_sel_hi:[1,0,1]
	v_pk_fma_f16 v61, v30, v58, v76 op_sel:[0,1,0]
	v_pk_fma_f16 v76, v31, v58, v77 op_sel_hi:[1,0,1]
	v_pk_fma_f16 v77, v31, v58, v78 op_sel:[0,1,0]
	v_pk_fma_f16 v78, v32, v58, v79 op_sel_hi:[1,0,1]
	v_pk_fma_f16 v79, v32, v58, v80 op_sel:[0,1,0]
	v_pk_fma_f16 v80, v33, v58, v81 op_sel_hi:[1,0,1]
	v_pk_fma_f16 v81, v33, v58, v82 op_sel:[0,1,0]
	ds_read2_b64 v[30:33], v20 offset0:128 offset1:160
	s_waitcnt lgkmcnt(1)
	v_pk_fma_f16 v82, v68, v58, v83 op_sel_hi:[1,0,1]
	v_pk_fma_f16 v55, v68, v58, v55 op_sel:[0,1,0]
	v_pk_fma_f16 v83, v69, v58, v84 op_sel_hi:[1,0,1]
	v_pk_fma_f16 v84, v69, v58, v85 op_sel:[0,1,0]
	v_pk_fma_f16 v85, v70, v58, v86 op_sel_hi:[1,0,1]
	v_pk_fma_f16 v86, v70, v58, v87 op_sel:[0,1,0]
	v_pk_fma_f16 v60, v71, v58, v60 op_sel_hi:[1,0,1]
	v_pk_fma_f16 v56, v71, v58, v56 op_sel:[0,1,0]
	ds_read2_b64 v[68:71], v20 offset0:192 offset1:224
	s_waitcnt lgkmcnt(1)
	v_pk_fma_f16 v87, v30, v59, v57 op_sel_hi:[1,0,1]
	v_pk_fma_f16 v61, v30, v59, v61 op_sel:[0,1,0]
	v_pk_fma_f16 v76, v31, v59, v76 op_sel_hi:[1,0,1]
	v_pk_fma_f16 v77, v31, v59, v77 op_sel:[0,1,0]
	v_pk_fma_f16 v78, v32, v59, v78 op_sel_hi:[1,0,1]
	v_pk_fma_f16 v79, v32, v59, v79 op_sel:[0,1,0]
	v_pk_fma_f16 v80, v33, v59, v80 op_sel_hi:[1,0,1]
	v_pk_fma_f16 v81, v33, v59, v81 op_sel:[0,1,0]
	ds_read2_b64 v[30:33], v24 offset1:32
	s_waitcnt lgkmcnt(1)
	v_pk_fma_f16 v82, v68, v59, v82 op_sel_hi:[1,0,1]
	v_pk_fma_f16 v55, v68, v59, v55 op_sel:[0,1,0]
	v_pk_fma_f16 v68, v69, v59, v83 op_sel_hi:[1,0,1]
	v_pk_fma_f16 v69, v69, v59, v84 op_sel:[0,1,0]
	v_pk_fma_f16 v83, v70, v59, v85 op_sel_hi:[1,0,1]
	v_pk_fma_f16 v70, v70, v59, v86 op_sel:[0,1,0]
	v_pk_fma_f16 v60, v71, v59, v60 op_sel_hi:[1,0,1]
	v_pk_fma_f16 v71, v71, v59, v56 op_sel:[0,1,0]
	ds_read2_b64 v[56:59], v24 offset0:64 offset1:96
	;; [unrolled: 40-line block ×5, first 2 shown]
	s_waitcnt lgkmcnt(1)
	v_pk_fma_f16 v5, v30, v6, v71 op_sel_hi:[1,0,1]
	v_pk_fma_f16 v61, v30, v6, v61 op_sel:[0,1,0]
	v_pk_fma_f16 v108, v31, v6, v72 op_sel_hi:[1,0,1]
	v_pk_fma_f16 v109, v31, v6, v73 op_sel:[0,1,0]
	;; [unrolled: 2-line block ×4, first 2 shown]
	ds_read2_b64 v[30:33], v28 offset0:128 offset1:160
	s_or_b32 s10, s6, 0x60
	s_mul_hi_i32 s11, s10, s14
	s_mul_i32 s10, s10, s14
	s_lshl_b64 s[10:11], s[10:11], 2
	s_waitcnt lgkmcnt(1)
	v_pk_fma_f16 v114, v56, v6, v78 op_sel_hi:[1,0,1]
	v_pk_fma_f16 v55, v56, v6, v55 op_sel:[0,1,0]
	v_pk_fma_f16 v115, v57, v6, v68 op_sel_hi:[1,0,1]
	v_pk_fma_f16 v116, v57, v6, v69 op_sel:[0,1,0]
	;; [unrolled: 2-line block ×4, first 2 shown]
	s_waitcnt lgkmcnt(0)
	v_pk_fma_f16 v119, v30, v7, v5 op_sel_hi:[1,0,1]
	v_mov_b32_e32 v5, s11
	v_add_co_u32_e32 v4, vcc, s10, v48
	v_addc_co_u32_e32 v5, vcc, v49, v5, vcc
	ds_read2_b64 v[56:59], v28 offset0:192 offset1:224
	ds_read2_b64 v[68:71], v29 offset1:32
	ds_read2_b64 v[72:75], v29 offset0:64 offset1:96
	ds_read2_b64 v[76:79], v29 offset0:128 offset1:160
	;; [unrolled: 1-line block ×3, first 2 shown]
	ds_read2_b64 v[84:87], v22 offset1:32
	ds_read2_b64 v[88:91], v22 offset0:64 offset1:96
	ds_read2_b64 v[92:95], v22 offset0:128 offset1:160
	;; [unrolled: 1-line block ×3, first 2 shown]
	s_waitcnt lgkmcnt(0)
	s_barrier
	global_load_dwordx4 v[100:103], v[4:5], off
	global_load_dwordx4 v[104:107], v[4:5], off offset:512
	v_pk_fma_f16 v30, v30, v7, v61 op_sel:[0,1,0]
	v_pk_fma_f16 v4, v31, v7, v108 op_sel_hi:[1,0,1]
	v_pk_fma_f16 v5, v31, v7, v109 op_sel:[0,1,0]
	v_pk_fma_f16 v31, v32, v7, v110 op_sel_hi:[1,0,1]
	;; [unrolled: 2-line block ×39, first 2 shown]
	v_pk_fma_f16 v88, v99, v3, v0 op_sel:[0,1,0]
	s_waitcnt vmcnt(1)
	ds_write_b128 v45, v[100:103]
	s_waitcnt vmcnt(0)
	ds_write_b128 v46, v[104:107]
	s_waitcnt lgkmcnt(0)
	s_barrier
	ds_read2_b64 v[30:33], v47 offset1:32
	ds_read_b128 v[56:59], v44 offset:384
	ds_read2_b64 v[68:71], v47 offset0:64 offset1:96
	ds_read_b128 v[72:75], v44 offset:400
	ds_read_b128 v[4:7], v44 offset:416
	;; [unrolled: 1-line block ×3, first 2 shown]
	s_waitcnt lgkmcnt(4)
	v_pk_fma_f16 v61, v30, v56, v61 op_sel_hi:[1,0,1]
	v_pk_fma_f16 v76, v30, v56, v76 op_sel:[0,1,0]
	v_pk_fma_f16 v77, v31, v56, v77 op_sel_hi:[1,0,1]
	v_pk_fma_f16 v78, v31, v56, v78 op_sel:[0,1,0]
	v_pk_fma_f16 v79, v32, v56, v79 op_sel_hi:[1,0,1]
	v_pk_fma_f16 v80, v32, v56, v80 op_sel:[0,1,0]
	v_pk_fma_f16 v81, v33, v56, v81 op_sel_hi:[1,0,1]
	v_pk_fma_f16 v82, v33, v56, v82 op_sel:[0,1,0]
	ds_read2_b64 v[30:33], v47 offset0:128 offset1:160
	s_waitcnt lgkmcnt(4)
	v_pk_fma_f16 v83, v68, v56, v83 op_sel_hi:[1,0,1]
	v_pk_fma_f16 v55, v68, v56, v55 op_sel:[0,1,0]
	v_pk_fma_f16 v84, v69, v56, v84 op_sel_hi:[1,0,1]
	v_pk_fma_f16 v85, v69, v56, v85 op_sel:[0,1,0]
	v_pk_fma_f16 v86, v70, v56, v86 op_sel_hi:[1,0,1]
	v_pk_fma_f16 v87, v70, v56, v87 op_sel:[0,1,0]
	v_pk_fma_f16 v60, v71, v56, v60 op_sel_hi:[1,0,1]
	v_pk_fma_f16 v56, v71, v56, v88 op_sel:[0,1,0]
	ds_read2_b64 v[68:71], v47 offset0:192 offset1:224
	s_waitcnt lgkmcnt(1)
	v_pk_fma_f16 v61, v30, v57, v61 op_sel_hi:[1,0,1]
	v_pk_fma_f16 v76, v30, v57, v76 op_sel:[0,1,0]
	v_pk_fma_f16 v77, v31, v57, v77 op_sel_hi:[1,0,1]
	v_pk_fma_f16 v78, v31, v57, v78 op_sel:[0,1,0]
	v_pk_fma_f16 v79, v32, v57, v79 op_sel_hi:[1,0,1]
	v_pk_fma_f16 v80, v32, v57, v80 op_sel:[0,1,0]
	v_pk_fma_f16 v81, v33, v57, v81 op_sel_hi:[1,0,1]
	v_pk_fma_f16 v82, v33, v57, v82 op_sel:[0,1,0]
	ds_read2_b64 v[30:33], v20 offset1:32
	s_waitcnt lgkmcnt(1)
	v_pk_fma_f16 v83, v68, v57, v83 op_sel_hi:[1,0,1]
	v_pk_fma_f16 v55, v68, v57, v55 op_sel:[0,1,0]
	v_pk_fma_f16 v84, v69, v57, v84 op_sel_hi:[1,0,1]
	v_pk_fma_f16 v85, v69, v57, v85 op_sel:[0,1,0]
	v_pk_fma_f16 v86, v70, v57, v86 op_sel_hi:[1,0,1]
	v_pk_fma_f16 v87, v70, v57, v87 op_sel:[0,1,0]
	v_pk_fma_f16 v60, v71, v57, v60 op_sel_hi:[1,0,1]
	v_pk_fma_f16 v56, v71, v57, v56 op_sel:[0,1,0]
	ds_read2_b64 v[68:71], v20 offset0:64 offset1:96
	s_waitcnt lgkmcnt(1)
	v_pk_fma_f16 v57, v30, v58, v61 op_sel_hi:[1,0,1]
	v_pk_fma_f16 v61, v30, v58, v76 op_sel:[0,1,0]
	v_pk_fma_f16 v76, v31, v58, v77 op_sel_hi:[1,0,1]
	v_pk_fma_f16 v77, v31, v58, v78 op_sel:[0,1,0]
	v_pk_fma_f16 v78, v32, v58, v79 op_sel_hi:[1,0,1]
	v_pk_fma_f16 v79, v32, v58, v80 op_sel:[0,1,0]
	v_pk_fma_f16 v80, v33, v58, v81 op_sel_hi:[1,0,1]
	v_pk_fma_f16 v81, v33, v58, v82 op_sel:[0,1,0]
	ds_read2_b64 v[30:33], v20 offset0:128 offset1:160
	s_waitcnt lgkmcnt(1)
	v_pk_fma_f16 v82, v68, v58, v83 op_sel_hi:[1,0,1]
	v_pk_fma_f16 v55, v68, v58, v55 op_sel:[0,1,0]
	v_pk_fma_f16 v83, v69, v58, v84 op_sel_hi:[1,0,1]
	v_pk_fma_f16 v84, v69, v58, v85 op_sel:[0,1,0]
	v_pk_fma_f16 v85, v70, v58, v86 op_sel_hi:[1,0,1]
	v_pk_fma_f16 v86, v70, v58, v87 op_sel:[0,1,0]
	v_pk_fma_f16 v60, v71, v58, v60 op_sel_hi:[1,0,1]
	v_pk_fma_f16 v56, v71, v58, v56 op_sel:[0,1,0]
	ds_read2_b64 v[68:71], v20 offset0:192 offset1:224
	s_waitcnt lgkmcnt(1)
	v_pk_fma_f16 v87, v30, v59, v57 op_sel_hi:[1,0,1]
	v_pk_fma_f16 v61, v30, v59, v61 op_sel:[0,1,0]
	v_pk_fma_f16 v76, v31, v59, v76 op_sel_hi:[1,0,1]
	v_pk_fma_f16 v77, v31, v59, v77 op_sel:[0,1,0]
	v_pk_fma_f16 v78, v32, v59, v78 op_sel_hi:[1,0,1]
	v_pk_fma_f16 v79, v32, v59, v79 op_sel:[0,1,0]
	v_pk_fma_f16 v80, v33, v59, v80 op_sel_hi:[1,0,1]
	v_pk_fma_f16 v81, v33, v59, v81 op_sel:[0,1,0]
	ds_read2_b64 v[30:33], v24 offset1:32
	s_waitcnt lgkmcnt(1)
	v_pk_fma_f16 v82, v68, v59, v82 op_sel_hi:[1,0,1]
	v_pk_fma_f16 v55, v68, v59, v55 op_sel:[0,1,0]
	v_pk_fma_f16 v68, v69, v59, v83 op_sel_hi:[1,0,1]
	v_pk_fma_f16 v69, v69, v59, v84 op_sel:[0,1,0]
	v_pk_fma_f16 v83, v70, v59, v85 op_sel_hi:[1,0,1]
	v_pk_fma_f16 v70, v70, v59, v86 op_sel:[0,1,0]
	v_pk_fma_f16 v60, v71, v59, v60 op_sel_hi:[1,0,1]
	v_pk_fma_f16 v71, v71, v59, v56 op_sel:[0,1,0]
	ds_read2_b64 v[56:59], v24 offset0:64 offset1:96
	;; [unrolled: 40-line block ×5, first 2 shown]
	s_waitcnt lgkmcnt(1)
	v_pk_fma_f16 v5, v30, v6, v71 op_sel_hi:[1,0,1]
	v_pk_fma_f16 v61, v30, v6, v61 op_sel:[0,1,0]
	v_pk_fma_f16 v108, v31, v6, v72 op_sel_hi:[1,0,1]
	v_pk_fma_f16 v109, v31, v6, v73 op_sel:[0,1,0]
	;; [unrolled: 2-line block ×4, first 2 shown]
	ds_read2_b64 v[30:33], v28 offset0:128 offset1:160
	s_or_b32 s10, s6, 0x70
	s_mul_hi_i32 s11, s10, s14
	s_mul_i32 s10, s10, s14
	s_lshl_b64 s[10:11], s[10:11], 2
	s_waitcnt lgkmcnt(1)
	v_pk_fma_f16 v114, v56, v6, v78 op_sel_hi:[1,0,1]
	v_pk_fma_f16 v55, v56, v6, v55 op_sel:[0,1,0]
	v_pk_fma_f16 v115, v57, v6, v68 op_sel_hi:[1,0,1]
	v_pk_fma_f16 v116, v57, v6, v69 op_sel:[0,1,0]
	;; [unrolled: 2-line block ×4, first 2 shown]
	s_waitcnt lgkmcnt(0)
	v_pk_fma_f16 v119, v30, v7, v5 op_sel_hi:[1,0,1]
	v_mov_b32_e32 v5, s11
	v_add_co_u32_e32 v4, vcc, s10, v48
	v_addc_co_u32_e32 v5, vcc, v49, v5, vcc
	ds_read2_b64 v[56:59], v28 offset0:192 offset1:224
	ds_read2_b64 v[68:71], v29 offset1:32
	ds_read2_b64 v[72:75], v29 offset0:64 offset1:96
	ds_read2_b64 v[76:79], v29 offset0:128 offset1:160
	;; [unrolled: 1-line block ×3, first 2 shown]
	ds_read2_b64 v[84:87], v22 offset1:32
	ds_read2_b64 v[88:91], v22 offset0:64 offset1:96
	ds_read2_b64 v[92:95], v22 offset0:128 offset1:160
	;; [unrolled: 1-line block ×3, first 2 shown]
	s_waitcnt lgkmcnt(0)
	s_barrier
	global_load_dwordx4 v[100:103], v[4:5], off
	global_load_dwordx4 v[104:107], v[4:5], off offset:512
	v_pk_fma_f16 v30, v30, v7, v61 op_sel:[0,1,0]
	v_pk_fma_f16 v4, v31, v7, v108 op_sel_hi:[1,0,1]
	v_pk_fma_f16 v5, v31, v7, v109 op_sel:[0,1,0]
	v_pk_fma_f16 v31, v32, v7, v110 op_sel_hi:[1,0,1]
	v_pk_fma_f16 v32, v32, v7, v111 op_sel:[0,1,0]
	v_pk_fma_f16 v61, v33, v7, v112 op_sel_hi:[1,0,1]
	v_pk_fma_f16 v33, v33, v7, v113 op_sel:[0,1,0]
	v_pk_fma_f16 v108, v56, v7, v114 op_sel_hi:[1,0,1]
	v_pk_fma_f16 v55, v56, v7, v55 op_sel:[0,1,0]
	v_pk_fma_f16 v56, v57, v7, v115 op_sel_hi:[1,0,1]
	v_pk_fma_f16 v57, v57, v7, v116 op_sel:[0,1,0]
	v_pk_fma_f16 v109, v58, v7, v117 op_sel_hi:[1,0,1]
	v_pk_fma_f16 v58, v58, v7, v118 op_sel:[0,1,0]
	v_pk_fma_f16 v60, v59, v7, v60 op_sel_hi:[1,0,1]
	v_pk_fma_f16 v6, v59, v7, v6 op_sel:[0,1,0]
	v_pk_fma_f16 v7, v68, v0, v119 op_sel_hi:[1,0,1]
	v_pk_fma_f16 v30, v68, v0, v30 op_sel:[0,1,0]
	v_pk_fma_f16 v4, v69, v0, v4 op_sel_hi:[1,0,1]
	v_pk_fma_f16 v5, v69, v0, v5 op_sel:[0,1,0]
	v_pk_fma_f16 v31, v70, v0, v31 op_sel_hi:[1,0,1]
	v_pk_fma_f16 v32, v70, v0, v32 op_sel:[0,1,0]
	v_pk_fma_f16 v59, v71, v0, v61 op_sel_hi:[1,0,1]
	v_pk_fma_f16 v33, v71, v0, v33 op_sel:[0,1,0]
	v_pk_fma_f16 v61, v72, v0, v108 op_sel_hi:[1,0,1]
	v_pk_fma_f16 v55, v72, v0, v55 op_sel:[0,1,0]
	v_pk_fma_f16 v56, v73, v0, v56 op_sel_hi:[1,0,1]
	v_pk_fma_f16 v57, v73, v0, v57 op_sel:[0,1,0]
	v_pk_fma_f16 v68, v74, v0, v109 op_sel_hi:[1,0,1]
	v_pk_fma_f16 v58, v74, v0, v58 op_sel:[0,1,0]
	v_pk_fma_f16 v60, v75, v0, v60 op_sel_hi:[1,0,1]
	v_pk_fma_f16 v0, v75, v0, v6 op_sel:[0,1,0]
	v_pk_fma_f16 v6, v76, v1, v7 op_sel_hi:[1,0,1]
	v_pk_fma_f16 v7, v76, v1, v30 op_sel:[0,1,0]
	v_pk_fma_f16 v4, v77, v1, v4 op_sel_hi:[1,0,1]
	v_pk_fma_f16 v5, v77, v1, v5 op_sel:[0,1,0]
	v_pk_fma_f16 v30, v78, v1, v31 op_sel_hi:[1,0,1]
	v_pk_fma_f16 v31, v78, v1, v32 op_sel:[0,1,0]
	v_pk_fma_f16 v32, v79, v1, v59 op_sel_hi:[1,0,1]
	v_pk_fma_f16 v33, v79, v1, v33 op_sel:[0,1,0]
	v_pk_fma_f16 v59, v80, v1, v61 op_sel_hi:[1,0,1]
	v_pk_fma_f16 v55, v80, v1, v55 op_sel:[0,1,0]
	v_pk_fma_f16 v56, v81, v1, v56 op_sel_hi:[1,0,1]
	v_pk_fma_f16 v57, v81, v1, v57 op_sel:[0,1,0]
	v_pk_fma_f16 v61, v82, v1, v68 op_sel_hi:[1,0,1]
	v_pk_fma_f16 v58, v82, v1, v58 op_sel:[0,1,0]
	v_pk_fma_f16 v60, v83, v1, v60 op_sel_hi:[1,0,1]
	v_pk_fma_f16 v0, v83, v1, v0 op_sel:[0,1,0]
	v_pk_fma_f16 v1, v84, v2, v6 op_sel_hi:[1,0,1]
	v_pk_fma_f16 v6, v84, v2, v7 op_sel:[0,1,0]
	v_pk_fma_f16 v4, v85, v2, v4 op_sel_hi:[1,0,1]
	v_pk_fma_f16 v5, v85, v2, v5 op_sel:[0,1,0]
	v_pk_fma_f16 v7, v86, v2, v30 op_sel_hi:[1,0,1]
	v_pk_fma_f16 v30, v86, v2, v31 op_sel:[0,1,0]
	v_pk_fma_f16 v31, v87, v2, v32 op_sel_hi:[1,0,1]
	v_pk_fma_f16 v32, v87, v2, v33 op_sel:[0,1,0]
	v_pk_fma_f16 v33, v88, v2, v59 op_sel_hi:[1,0,1]
	v_pk_fma_f16 v55, v88, v2, v55 op_sel:[0,1,0]
	v_pk_fma_f16 v56, v89, v2, v56 op_sel_hi:[1,0,1]
	v_pk_fma_f16 v57, v89, v2, v57 op_sel:[0,1,0]
	v_pk_fma_f16 v59, v90, v2, v61 op_sel_hi:[1,0,1]
	v_pk_fma_f16 v58, v90, v2, v58 op_sel:[0,1,0]
	v_pk_fma_f16 v60, v91, v2, v60 op_sel_hi:[1,0,1]
	v_pk_fma_f16 v0, v91, v2, v0 op_sel:[0,1,0]
	v_pk_fma_f16 v61, v92, v3, v1 op_sel_hi:[1,0,1]
	v_pk_fma_f16 v76, v92, v3, v6 op_sel:[0,1,0]
	v_pk_fma_f16 v77, v93, v3, v4 op_sel_hi:[1,0,1]
	v_pk_fma_f16 v78, v93, v3, v5 op_sel:[0,1,0]
	v_pk_fma_f16 v79, v94, v3, v7 op_sel_hi:[1,0,1]
	v_pk_fma_f16 v80, v94, v3, v30 op_sel:[0,1,0]
	v_pk_fma_f16 v81, v95, v3, v31 op_sel_hi:[1,0,1]
	v_pk_fma_f16 v82, v95, v3, v32 op_sel:[0,1,0]
	v_pk_fma_f16 v83, v96, v3, v33 op_sel_hi:[1,0,1]
	v_pk_fma_f16 v55, v96, v3, v55 op_sel:[0,1,0]
	v_pk_fma_f16 v84, v97, v3, v56 op_sel_hi:[1,0,1]
	v_pk_fma_f16 v85, v97, v3, v57 op_sel:[0,1,0]
	v_pk_fma_f16 v86, v98, v3, v59 op_sel_hi:[1,0,1]
	v_pk_fma_f16 v87, v98, v3, v58 op_sel:[0,1,0]
	v_pk_fma_f16 v60, v99, v3, v60 op_sel_hi:[1,0,1]
	v_pk_fma_f16 v88, v99, v3, v0 op_sel:[0,1,0]
	s_waitcnt vmcnt(1)
	ds_write_b128 v45, v[100:103]
	s_waitcnt vmcnt(0)
	ds_write_b128 v46, v[104:107]
	s_waitcnt lgkmcnt(0)
	s_barrier
	ds_read2_b64 v[30:33], v47 offset1:32
	ds_read_b128 v[56:59], v44 offset:448
	ds_read2_b64 v[68:71], v47 offset0:64 offset1:96
	ds_read_b128 v[72:75], v44 offset:464
	ds_read_b128 v[4:7], v44 offset:480
	;; [unrolled: 1-line block ×3, first 2 shown]
	s_waitcnt lgkmcnt(4)
	v_pk_fma_f16 v61, v30, v56, v61 op_sel_hi:[1,0,1]
	v_pk_fma_f16 v76, v30, v56, v76 op_sel:[0,1,0]
	v_pk_fma_f16 v77, v31, v56, v77 op_sel_hi:[1,0,1]
	v_pk_fma_f16 v78, v31, v56, v78 op_sel:[0,1,0]
	v_pk_fma_f16 v79, v32, v56, v79 op_sel_hi:[1,0,1]
	v_pk_fma_f16 v80, v32, v56, v80 op_sel:[0,1,0]
	v_pk_fma_f16 v81, v33, v56, v81 op_sel_hi:[1,0,1]
	v_pk_fma_f16 v82, v33, v56, v82 op_sel:[0,1,0]
	ds_read2_b64 v[30:33], v47 offset0:128 offset1:160
	s_waitcnt lgkmcnt(4)
	v_pk_fma_f16 v83, v68, v56, v83 op_sel_hi:[1,0,1]
	v_pk_fma_f16 v55, v68, v56, v55 op_sel:[0,1,0]
	v_pk_fma_f16 v84, v69, v56, v84 op_sel_hi:[1,0,1]
	v_pk_fma_f16 v85, v69, v56, v85 op_sel:[0,1,0]
	v_pk_fma_f16 v86, v70, v56, v86 op_sel_hi:[1,0,1]
	v_pk_fma_f16 v87, v70, v56, v87 op_sel:[0,1,0]
	v_pk_fma_f16 v60, v71, v56, v60 op_sel_hi:[1,0,1]
	v_pk_fma_f16 v56, v71, v56, v88 op_sel:[0,1,0]
	ds_read2_b64 v[68:71], v47 offset0:192 offset1:224
	s_waitcnt lgkmcnt(1)
	v_pk_fma_f16 v61, v30, v57, v61 op_sel_hi:[1,0,1]
	v_pk_fma_f16 v76, v30, v57, v76 op_sel:[0,1,0]
	v_pk_fma_f16 v77, v31, v57, v77 op_sel_hi:[1,0,1]
	v_pk_fma_f16 v78, v31, v57, v78 op_sel:[0,1,0]
	v_pk_fma_f16 v79, v32, v57, v79 op_sel_hi:[1,0,1]
	v_pk_fma_f16 v80, v32, v57, v80 op_sel:[0,1,0]
	v_pk_fma_f16 v81, v33, v57, v81 op_sel_hi:[1,0,1]
	v_pk_fma_f16 v82, v33, v57, v82 op_sel:[0,1,0]
	ds_read2_b64 v[30:33], v20 offset1:32
	s_waitcnt lgkmcnt(1)
	v_pk_fma_f16 v83, v68, v57, v83 op_sel_hi:[1,0,1]
	v_pk_fma_f16 v55, v68, v57, v55 op_sel:[0,1,0]
	v_pk_fma_f16 v84, v69, v57, v84 op_sel_hi:[1,0,1]
	v_pk_fma_f16 v85, v69, v57, v85 op_sel:[0,1,0]
	v_pk_fma_f16 v86, v70, v57, v86 op_sel_hi:[1,0,1]
	v_pk_fma_f16 v87, v70, v57, v87 op_sel:[0,1,0]
	v_pk_fma_f16 v60, v71, v57, v60 op_sel_hi:[1,0,1]
	v_pk_fma_f16 v56, v71, v57, v56 op_sel:[0,1,0]
	ds_read2_b64 v[68:71], v20 offset0:64 offset1:96
	s_waitcnt lgkmcnt(1)
	v_pk_fma_f16 v57, v30, v58, v61 op_sel_hi:[1,0,1]
	v_pk_fma_f16 v61, v30, v58, v76 op_sel:[0,1,0]
	v_pk_fma_f16 v76, v31, v58, v77 op_sel_hi:[1,0,1]
	v_pk_fma_f16 v77, v31, v58, v78 op_sel:[0,1,0]
	v_pk_fma_f16 v78, v32, v58, v79 op_sel_hi:[1,0,1]
	v_pk_fma_f16 v79, v32, v58, v80 op_sel:[0,1,0]
	v_pk_fma_f16 v80, v33, v58, v81 op_sel_hi:[1,0,1]
	v_pk_fma_f16 v81, v33, v58, v82 op_sel:[0,1,0]
	ds_read2_b64 v[30:33], v20 offset0:128 offset1:160
	s_waitcnt lgkmcnt(1)
	v_pk_fma_f16 v82, v68, v58, v83 op_sel_hi:[1,0,1]
	v_pk_fma_f16 v55, v68, v58, v55 op_sel:[0,1,0]
	v_pk_fma_f16 v83, v69, v58, v84 op_sel_hi:[1,0,1]
	v_pk_fma_f16 v84, v69, v58, v85 op_sel:[0,1,0]
	v_pk_fma_f16 v85, v70, v58, v86 op_sel_hi:[1,0,1]
	v_pk_fma_f16 v86, v70, v58, v87 op_sel:[0,1,0]
	v_pk_fma_f16 v60, v71, v58, v60 op_sel_hi:[1,0,1]
	v_pk_fma_f16 v56, v71, v58, v56 op_sel:[0,1,0]
	ds_read2_b64 v[68:71], v20 offset0:192 offset1:224
	s_waitcnt lgkmcnt(1)
	v_pk_fma_f16 v20, v30, v59, v57 op_sel_hi:[1,0,1]
	v_pk_fma_f16 v61, v30, v59, v61 op_sel:[0,1,0]
	v_pk_fma_f16 v76, v31, v59, v76 op_sel_hi:[1,0,1]
	v_pk_fma_f16 v77, v31, v59, v77 op_sel:[0,1,0]
	v_pk_fma_f16 v78, v32, v59, v78 op_sel_hi:[1,0,1]
	v_pk_fma_f16 v79, v32, v59, v79 op_sel:[0,1,0]
	v_pk_fma_f16 v80, v33, v59, v80 op_sel_hi:[1,0,1]
	v_pk_fma_f16 v81, v33, v59, v81 op_sel:[0,1,0]
	ds_read2_b64 v[30:33], v24 offset1:32
	s_waitcnt lgkmcnt(1)
	v_pk_fma_f16 v82, v68, v59, v82 op_sel_hi:[1,0,1]
	v_pk_fma_f16 v55, v68, v59, v55 op_sel:[0,1,0]
	v_pk_fma_f16 v68, v69, v59, v83 op_sel_hi:[1,0,1]
	v_pk_fma_f16 v69, v69, v59, v84 op_sel:[0,1,0]
	v_pk_fma_f16 v83, v70, v59, v85 op_sel_hi:[1,0,1]
	v_pk_fma_f16 v70, v70, v59, v86 op_sel:[0,1,0]
	v_pk_fma_f16 v60, v71, v59, v60 op_sel_hi:[1,0,1]
	v_pk_fma_f16 v71, v71, v59, v56 op_sel:[0,1,0]
	ds_read2_b64 v[56:59], v24 offset0:64 offset1:96
	;; [unrolled: 40-line block ×6, first 2 shown]
	s_waitcnt lgkmcnt(1)
	v_pk_fma_f16 v28, v30, v0, v28 op_sel_hi:[1,0,1]
	v_pk_fma_f16 v20, v30, v0, v20 op_sel:[0,1,0]
	v_pk_fma_f16 v24, v31, v0, v24 op_sel_hi:[1,0,1]
	v_pk_fma_f16 v26, v31, v0, v26 op_sel:[0,1,0]
	;; [unrolled: 2-line block ×4, first 2 shown]
	ds_read2_b64 v[30:33], v29 offset0:128 offset1:160
	s_waitcnt lgkmcnt(1)
	v_pk_fma_f16 v71, v4, v0, v73 op_sel_hi:[1,0,1]
	v_pk_fma_f16 v55, v4, v0, v55 op_sel:[0,1,0]
	v_pk_fma_f16 v56, v5, v0, v56 op_sel_hi:[1,0,1]
	v_pk_fma_f16 v57, v5, v0, v57 op_sel:[0,1,0]
	;; [unrolled: 2-line block ×4, first 2 shown]
	ds_read2_b64 v[4:7], v29 offset0:192 offset1:224
	s_waitcnt lgkmcnt(1)
	v_pk_fma_f16 v59, v30, v1, v28 op_sel_hi:[1,0,1]
	v_pk_fma_f16 v20, v30, v1, v20 op_sel:[0,1,0]
	v_pk_fma_f16 v24, v31, v1, v24 op_sel_hi:[1,0,1]
	v_pk_fma_f16 v30, v31, v1, v26 op_sel:[0,1,0]
	v_pk_fma_f16 v31, v32, v1, v27 op_sel_hi:[1,0,1]
	ds_read2_b64 v[26:29], v22 offset1:32
	v_pk_fma_f16 v32, v32, v1, v61 op_sel:[0,1,0]
	v_pk_fma_f16 v61, v33, v1, v69 op_sel_hi:[1,0,1]
	v_pk_fma_f16 v33, v33, v1, v70 op_sel:[0,1,0]
	s_waitcnt lgkmcnt(1)
	v_pk_fma_f16 v69, v4, v1, v71 op_sel_hi:[1,0,1]
	v_pk_fma_f16 v55, v4, v1, v55 op_sel:[0,1,0]
	v_pk_fma_f16 v56, v5, v1, v56 op_sel_hi:[1,0,1]
	v_pk_fma_f16 v57, v5, v1, v57 op_sel:[0,1,0]
	;; [unrolled: 2-line block ×4, first 2 shown]
	ds_read2_b64 v[4:7], v22 offset0:64 offset1:96
	s_waitcnt lgkmcnt(1)
	v_pk_fma_f16 v1, v26, v2, v59 op_sel_hi:[1,0,1]
	v_pk_fma_f16 v20, v26, v2, v20 op_sel:[0,1,0]
	v_pk_fma_f16 v24, v27, v2, v24 op_sel_hi:[1,0,1]
	v_pk_fma_f16 v70, v27, v2, v30 op_sel:[0,1,0]
	;; [unrolled: 2-line block ×4, first 2 shown]
	ds_read2_b64 v[26:29], v22 offset0:128 offset1:160
	ds_read2_b64 v[30:33], v22 offset0:192 offset1:224
	s_waitcnt lgkmcnt(0)
	s_barrier
	s_load_dword s10, s[8:9], 0x4
	v_pk_fma_f16 v69, v4, v2, v69 op_sel_hi:[1,0,1]
	v_pk_fma_f16 v74, v4, v2, v55 op_sel:[0,1,0]
	v_pk_fma_f16 v75, v5, v2, v56 op_sel_hi:[1,0,1]
	v_pk_fma_f16 v5, v5, v2, v57 op_sel:[0,1,0]
	s_waitcnt lgkmcnt(0)
	s_lshl_b32 s10, s10, 7
	v_pk_fma_f16 v57, v6, v2, v68 op_sel_hi:[1,0,1]
	v_pk_fma_f16 v6, v6, v2, v58 op_sel:[0,1,0]
	v_pk_fma_f16 v68, v7, v2, v60 op_sel_hi:[1,0,1]
	v_pk_fma_f16 v76, v7, v2, v0 op_sel:[0,1,0]
	s_add_i32 s6, s10, s6
	v_pk_fma_f16 v59, v26, v3, v1 op_sel_hi:[1,0,1]
	v_pk_fma_f16 v55, v26, v3, v20 op_sel:[0,1,0]
	v_pk_fma_f16 v22, v27, v3, v24 op_sel_hi:[1,0,1]
	v_pk_fma_f16 v4, v27, v3, v70 op_sel:[0,1,0]
	;; [unrolled: 2-line block ×7, first 2 shown]
	v_pk_fma_f16 v6, v33, v3, v68 op_sel_hi:[1,0,1]
	s_cmp_ge_i32 s6, s28
	v_pk_fma_f16 v1, v33, v3, v76 op_sel:[0,1,0]
	s_cbranch_scc1 .LBB29_42
.LBB29_10:                              ; =>This Inner Loop Header: Depth=1
	s_mul_hi_i32 s11, s6, s15
	s_mul_i32 s10, s6, s15
	s_lshl_b64 s[10:11], s[10:11], 2
	s_add_u32 s10, s18, s10
	s_addc_u32 s11, s19, s11
	v_mov_b32_e32 v3, s11
	v_add_co_u32_e32 v26, vcc, s10, v16
	v_addc_co_u32_e32 v3, vcc, v3, v17, vcc
	v_add_co_u32_e32 v26, vcc, v26, v50
	v_addc_co_u32_e32 v27, vcc, 0, v3, vcc
	v_mov_b32_e32 v3, s11
	v_add_co_u32_e32 v28, vcc, s10, v18
	v_addc_co_u32_e32 v3, vcc, v3, v19, vcc
	v_add_co_u32_e32 v28, vcc, v28, v50
	v_addc_co_u32_e32 v29, vcc, 0, v3, vcc
	global_load_dwordx4 v[64:67], v[26:27], off
	global_load_dwordx4 v[68:71], v[28:29], off
	v_mov_b32_e32 v30, 0
	v_mov_b32_e32 v3, 0
	;; [unrolled: 1-line block ×8, first 2 shown]
	s_waitcnt vmcnt(1)
	ds_write_b128 v25, v[64:67]
	s_waitcnt vmcnt(0)
	ds_write_b128 v34, v[68:71]
	s_waitcnt lgkmcnt(0)
	s_barrier
	ds_read_b128 v[64:67], v36
	ds_read_b128 v[68:71], v35
	ds_read_b128 v[72:75], v35 offset:4608
	ds_read_b128 v[76:79], v35 offset:9216
	;; [unrolled: 1-line block ×4, first 2 shown]
	s_waitcnt lgkmcnt(4)
	;;#ASMSTART
	v_dot2_f32_f16 v30, v68, v64, v30
	;;#ASMEND
	;;#ASMSTART
	v_dot2_f32_f16 v30, v69, v65, v30
	;;#ASMEND
	;; [unrolled: 3-line block ×4, first 2 shown]
	s_waitcnt lgkmcnt(0)
	;;#ASMSTART
	v_dot2_f32_f16 v3, v68, v84, v3
	;;#ASMEND
	;;#ASMSTART
	v_dot2_f32_f16 v3, v69, v85, v3
	;;#ASMEND
	;; [unrolled: 3-line block ×28, first 2 shown]
	ds_read_b128 v[64:67], v36 offset:16
	ds_read_b128 v[68:71], v35 offset:16
	;; [unrolled: 1-line block ×6, first 2 shown]
	s_waitcnt lgkmcnt(4)
	;;#ASMSTART
	v_dot2_f32_f16 v30, v68, v64, v30
	;;#ASMEND
	;;#ASMSTART
	v_dot2_f32_f16 v30, v69, v65, v30
	;;#ASMEND
	;; [unrolled: 3-line block ×4, first 2 shown]
	s_waitcnt lgkmcnt(0)
	;;#ASMSTART
	v_dot2_f32_f16 v3, v68, v84, v3
	;;#ASMEND
	;;#ASMSTART
	v_dot2_f32_f16 v3, v69, v85, v3
	;;#ASMEND
	;; [unrolled: 3-line block ×28, first 2 shown]
	ds_read_b128 v[64:67], v36 offset:32
	ds_read_b128 v[68:71], v35 offset:32
	ds_read_b128 v[72:75], v38 offset:4608
	ds_read_b128 v[76:79], v38 offset:9216
	ds_read_b128 v[80:83], v38 offset:13824
	ds_read_b128 v[84:87], v36 offset:1056
	s_waitcnt lgkmcnt(4)
	;;#ASMSTART
	v_dot2_f32_f16 v30, v68, v64, v30
	;;#ASMEND
	;;#ASMSTART
	v_dot2_f32_f16 v30, v69, v65, v30
	;;#ASMEND
	;;#ASMSTART
	v_dot2_f32_f16 v30, v70, v66, v30
	;;#ASMEND
	;;#ASMSTART
	v_dot2_f32_f16 v30, v71, v67, v30
	;;#ASMEND
	s_waitcnt lgkmcnt(0)
	;;#ASMSTART
	v_dot2_f32_f16 v3, v68, v84, v3
	;;#ASMEND
	;;#ASMSTART
	v_dot2_f32_f16 v3, v69, v85, v3
	;;#ASMEND
	;; [unrolled: 3-line block ×28, first 2 shown]
	ds_read_b128 v[64:67], v36 offset:48
	ds_read_b128 v[68:71], v35 offset:48
	;; [unrolled: 1-line block ×6, first 2 shown]
	s_waitcnt lgkmcnt(4)
	;;#ASMSTART
	v_dot2_f32_f16 v30, v68, v64, v30
	;;#ASMEND
	;;#ASMSTART
	v_dot2_f32_f16 v30, v69, v65, v30
	;;#ASMEND
	;; [unrolled: 3-line block ×4, first 2 shown]
	s_waitcnt lgkmcnt(0)
	;;#ASMSTART
	v_dot2_f32_f16 v3, v68, v84, v3
	;;#ASMEND
	;;#ASMSTART
	v_dot2_f32_f16 v3, v69, v85, v3
	;;#ASMEND
	;; [unrolled: 3-line block ×28, first 2 shown]
	ds_read_b128 v[64:67], v36 offset:64
	ds_read_b128 v[68:71], v35 offset:64
	;; [unrolled: 1-line block ×6, first 2 shown]
	s_waitcnt lgkmcnt(4)
	;;#ASMSTART
	v_dot2_f32_f16 v30, v68, v64, v30
	;;#ASMEND
	;;#ASMSTART
	v_dot2_f32_f16 v30, v69, v65, v30
	;;#ASMEND
	;; [unrolled: 3-line block ×4, first 2 shown]
	s_waitcnt lgkmcnt(0)
	;;#ASMSTART
	v_dot2_f32_f16 v3, v68, v84, v3
	;;#ASMEND
	;;#ASMSTART
	v_dot2_f32_f16 v3, v69, v85, v3
	;;#ASMEND
	;; [unrolled: 3-line block ×28, first 2 shown]
	ds_read_b128 v[64:67], v36 offset:80
	ds_read_b128 v[68:71], v35 offset:80
	;; [unrolled: 1-line block ×6, first 2 shown]
	s_waitcnt lgkmcnt(4)
	;;#ASMSTART
	v_dot2_f32_f16 v30, v68, v64, v30
	;;#ASMEND
	;;#ASMSTART
	v_dot2_f32_f16 v30, v69, v65, v30
	;;#ASMEND
	;;#ASMSTART
	v_dot2_f32_f16 v30, v70, v66, v30
	;;#ASMEND
	;;#ASMSTART
	v_dot2_f32_f16 v30, v71, v67, v30
	;;#ASMEND
	s_waitcnt lgkmcnt(0)
	;;#ASMSTART
	v_dot2_f32_f16 v3, v68, v84, v3
	;;#ASMEND
	;;#ASMSTART
	v_dot2_f32_f16 v3, v69, v85, v3
	;;#ASMEND
	;; [unrolled: 3-line block ×28, first 2 shown]
	ds_read_b128 v[64:67], v36 offset:96
	ds_read_b128 v[68:71], v35 offset:96
	;; [unrolled: 1-line block ×6, first 2 shown]
	s_waitcnt lgkmcnt(4)
	;;#ASMSTART
	v_dot2_f32_f16 v30, v68, v64, v30
	;;#ASMEND
	;;#ASMSTART
	v_dot2_f32_f16 v30, v69, v65, v30
	;;#ASMEND
	;; [unrolled: 3-line block ×4, first 2 shown]
	s_waitcnt lgkmcnt(0)
	;;#ASMSTART
	v_dot2_f32_f16 v3, v68, v84, v3
	;;#ASMEND
	;;#ASMSTART
	v_dot2_f32_f16 v3, v69, v85, v3
	;;#ASMEND
	;; [unrolled: 3-line block ×28, first 2 shown]
	ds_read_b128 v[64:67], v36 offset:112
	ds_read_b128 v[68:71], v35 offset:112
	;; [unrolled: 1-line block ×6, first 2 shown]
	s_waitcnt lgkmcnt(4)
	;;#ASMSTART
	v_dot2_f32_f16 v30, v68, v64, v30
	;;#ASMEND
	;;#ASMSTART
	v_dot2_f32_f16 v30, v69, v65, v30
	;;#ASMEND
	;; [unrolled: 3-line block ×4, first 2 shown]
	s_waitcnt lgkmcnt(0)
	;;#ASMSTART
	v_dot2_f32_f16 v3, v68, v84, v3
	;;#ASMEND
	;;#ASMSTART
	v_dot2_f32_f16 v3, v69, v85, v3
	;;#ASMEND
	;;#ASMSTART
	v_dot2_f32_f16 v3, v70, v86, v3
	;;#ASMEND
	;;#ASMSTART
	v_dot2_f32_f16 v3, v71, v87, v3
	;;#ASMEND
	;;#ASMSTART
	v_dot2_f32_f16 v31, v72, v64, v31
	;;#ASMEND
	;;#ASMSTART
	v_dot2_f32_f16 v31, v73, v65, v31
	;;#ASMEND
	;;#ASMSTART
	v_dot2_f32_f16 v31, v74, v66, v31
	;;#ASMEND
	;;#ASMSTART
	v_dot2_f32_f16 v31, v75, v67, v31
	;;#ASMEND
	;;#ASMSTART
	v_dot2_f32_f16 v32, v72, v84, v32
	;;#ASMEND
	;;#ASMSTART
	v_dot2_f32_f16 v32, v73, v85, v32
	;;#ASMEND
	;;#ASMSTART
	v_dot2_f32_f16 v32, v74, v86, v32
	;;#ASMEND
	;;#ASMSTART
	v_dot2_f32_f16 v32, v75, v87, v32
	;;#ASMEND
	;;#ASMSTART
	v_dot2_f32_f16 v62, v76, v64, v62
	;;#ASMEND
	;;#ASMSTART
	v_dot2_f32_f16 v62, v77, v65, v62
	;;#ASMEND
	;;#ASMSTART
	v_dot2_f32_f16 v62, v78, v66, v62
	;;#ASMEND
	;;#ASMSTART
	v_dot2_f32_f16 v62, v79, v67, v62
	;;#ASMEND
	;;#ASMSTART
	v_dot2_f32_f16 v33, v76, v84, v33
	;;#ASMEND
	;;#ASMSTART
	v_dot2_f32_f16 v33, v77, v85, v33
	;;#ASMEND
	;;#ASMSTART
	v_dot2_f32_f16 v33, v78, v86, v33
	;;#ASMEND
	;;#ASMSTART
	v_dot2_f32_f16 v33, v79, v87, v33
	;;#ASMEND
	;;#ASMSTART
	v_dot2_f32_f16 v63, v80, v64, v63
	;;#ASMEND
	;;#ASMSTART
	v_dot2_f32_f16 v63, v81, v65, v63
	;;#ASMEND
	;;#ASMSTART
	v_dot2_f32_f16 v63, v82, v66, v63
	;;#ASMEND
	;;#ASMSTART
	v_dot2_f32_f16 v63, v83, v67, v63
	;;#ASMEND
	;;#ASMSTART
	v_dot2_f32_f16 v61, v80, v84, v61
	;;#ASMEND
	;;#ASMSTART
	v_dot2_f32_f16 v61, v81, v85, v61
	;;#ASMEND
	;;#ASMSTART
	v_dot2_f32_f16 v61, v82, v86, v61
	;;#ASMEND
	;;#ASMSTART
	v_dot2_f32_f16 v61, v83, v87, v61
	;;#ASMEND
	s_barrier
	global_load_dwordx4 v[64:67], v[26:27], off offset:128
	global_load_dwordx4 v[68:71], v[28:29], off offset:128
	s_waitcnt vmcnt(1)
	ds_write_b128 v25, v[64:67]
	s_waitcnt vmcnt(0)
	ds_write_b128 v34, v[68:71]
	s_waitcnt lgkmcnt(0)
	s_barrier
	ds_read_b128 v[64:67], v36 offset:128
	ds_read_b128 v[68:71], v35
	ds_read_b128 v[72:75], v35 offset:4608
	ds_read_b128 v[76:79], v35 offset:9216
	;; [unrolled: 1-line block ×4, first 2 shown]
	s_waitcnt lgkmcnt(4)
	;;#ASMSTART
	v_dot2_f32_f16 v30, v68, v64, v30
	;;#ASMEND
	;;#ASMSTART
	v_dot2_f32_f16 v30, v69, v65, v30
	;;#ASMEND
	;; [unrolled: 3-line block ×4, first 2 shown]
	s_waitcnt lgkmcnt(0)
	;;#ASMSTART
	v_dot2_f32_f16 v3, v68, v84, v3
	;;#ASMEND
	;;#ASMSTART
	v_dot2_f32_f16 v3, v69, v85, v3
	;;#ASMEND
	;;#ASMSTART
	v_dot2_f32_f16 v3, v70, v86, v3
	;;#ASMEND
	;;#ASMSTART
	v_dot2_f32_f16 v3, v71, v87, v3
	;;#ASMEND
	;;#ASMSTART
	v_dot2_f32_f16 v31, v72, v64, v31
	;;#ASMEND
	;;#ASMSTART
	v_dot2_f32_f16 v31, v73, v65, v31
	;;#ASMEND
	;;#ASMSTART
	v_dot2_f32_f16 v31, v74, v66, v31
	;;#ASMEND
	;;#ASMSTART
	v_dot2_f32_f16 v31, v75, v67, v31
	;;#ASMEND
	;;#ASMSTART
	v_dot2_f32_f16 v32, v72, v84, v32
	;;#ASMEND
	;;#ASMSTART
	v_dot2_f32_f16 v32, v73, v85, v32
	;;#ASMEND
	;;#ASMSTART
	v_dot2_f32_f16 v32, v74, v86, v32
	;;#ASMEND
	;;#ASMSTART
	v_dot2_f32_f16 v32, v75, v87, v32
	;;#ASMEND
	;;#ASMSTART
	v_dot2_f32_f16 v62, v76, v64, v62
	;;#ASMEND
	;;#ASMSTART
	v_dot2_f32_f16 v62, v77, v65, v62
	;;#ASMEND
	;;#ASMSTART
	v_dot2_f32_f16 v62, v78, v66, v62
	;;#ASMEND
	;;#ASMSTART
	v_dot2_f32_f16 v62, v79, v67, v62
	;;#ASMEND
	;;#ASMSTART
	v_dot2_f32_f16 v33, v76, v84, v33
	;;#ASMEND
	;;#ASMSTART
	v_dot2_f32_f16 v33, v77, v85, v33
	;;#ASMEND
	;;#ASMSTART
	v_dot2_f32_f16 v33, v78, v86, v33
	;;#ASMEND
	;;#ASMSTART
	v_dot2_f32_f16 v33, v79, v87, v33
	;;#ASMEND
	;;#ASMSTART
	v_dot2_f32_f16 v63, v80, v64, v63
	;;#ASMEND
	;;#ASMSTART
	v_dot2_f32_f16 v63, v81, v65, v63
	;;#ASMEND
	;;#ASMSTART
	v_dot2_f32_f16 v63, v82, v66, v63
	;;#ASMEND
	;;#ASMSTART
	v_dot2_f32_f16 v63, v83, v67, v63
	;;#ASMEND
	;;#ASMSTART
	v_dot2_f32_f16 v61, v80, v84, v61
	;;#ASMEND
	;;#ASMSTART
	v_dot2_f32_f16 v61, v81, v85, v61
	;;#ASMEND
	;;#ASMSTART
	v_dot2_f32_f16 v61, v82, v86, v61
	;;#ASMEND
	;;#ASMSTART
	v_dot2_f32_f16 v61, v83, v87, v61
	;;#ASMEND
	ds_read_b128 v[64:67], v36 offset:144
	ds_read_b128 v[68:71], v35 offset:16
	;; [unrolled: 1-line block ×6, first 2 shown]
	s_waitcnt lgkmcnt(4)
	;;#ASMSTART
	v_dot2_f32_f16 v30, v68, v64, v30
	;;#ASMEND
	;;#ASMSTART
	v_dot2_f32_f16 v30, v69, v65, v30
	;;#ASMEND
	;; [unrolled: 3-line block ×4, first 2 shown]
	s_waitcnt lgkmcnt(0)
	;;#ASMSTART
	v_dot2_f32_f16 v3, v68, v84, v3
	;;#ASMEND
	;;#ASMSTART
	v_dot2_f32_f16 v3, v69, v85, v3
	;;#ASMEND
	;; [unrolled: 3-line block ×28, first 2 shown]
	ds_read_b128 v[64:67], v36 offset:160
	ds_read_b128 v[68:71], v35 offset:32
	;; [unrolled: 1-line block ×6, first 2 shown]
	s_waitcnt lgkmcnt(4)
	;;#ASMSTART
	v_dot2_f32_f16 v30, v68, v64, v30
	;;#ASMEND
	;;#ASMSTART
	v_dot2_f32_f16 v30, v69, v65, v30
	;;#ASMEND
	;; [unrolled: 3-line block ×4, first 2 shown]
	s_waitcnt lgkmcnt(0)
	;;#ASMSTART
	v_dot2_f32_f16 v3, v68, v84, v3
	;;#ASMEND
	;;#ASMSTART
	v_dot2_f32_f16 v3, v69, v85, v3
	;;#ASMEND
	;; [unrolled: 3-line block ×28, first 2 shown]
	ds_read_b128 v[64:67], v36 offset:176
	ds_read_b128 v[68:71], v35 offset:48
	;; [unrolled: 1-line block ×6, first 2 shown]
	s_waitcnt lgkmcnt(4)
	;;#ASMSTART
	v_dot2_f32_f16 v30, v68, v64, v30
	;;#ASMEND
	;;#ASMSTART
	v_dot2_f32_f16 v30, v69, v65, v30
	;;#ASMEND
	;;#ASMSTART
	v_dot2_f32_f16 v30, v70, v66, v30
	;;#ASMEND
	;;#ASMSTART
	v_dot2_f32_f16 v30, v71, v67, v30
	;;#ASMEND
	s_waitcnt lgkmcnt(0)
	;;#ASMSTART
	v_dot2_f32_f16 v3, v68, v84, v3
	;;#ASMEND
	;;#ASMSTART
	v_dot2_f32_f16 v3, v69, v85, v3
	;;#ASMEND
	;; [unrolled: 3-line block ×28, first 2 shown]
	ds_read_b128 v[64:67], v36 offset:192
	ds_read_b128 v[68:71], v35 offset:64
	;; [unrolled: 1-line block ×6, first 2 shown]
	s_waitcnt lgkmcnt(4)
	;;#ASMSTART
	v_dot2_f32_f16 v30, v68, v64, v30
	;;#ASMEND
	;;#ASMSTART
	v_dot2_f32_f16 v30, v69, v65, v30
	;;#ASMEND
	;;#ASMSTART
	v_dot2_f32_f16 v30, v70, v66, v30
	;;#ASMEND
	;;#ASMSTART
	v_dot2_f32_f16 v30, v71, v67, v30
	;;#ASMEND
	s_waitcnt lgkmcnt(0)
	;;#ASMSTART
	v_dot2_f32_f16 v3, v68, v84, v3
	;;#ASMEND
	;;#ASMSTART
	v_dot2_f32_f16 v3, v69, v85, v3
	;;#ASMEND
	;; [unrolled: 3-line block ×28, first 2 shown]
	ds_read_b128 v[64:67], v36 offset:208
	ds_read_b128 v[68:71], v35 offset:80
	;; [unrolled: 1-line block ×6, first 2 shown]
	s_waitcnt lgkmcnt(4)
	;;#ASMSTART
	v_dot2_f32_f16 v30, v68, v64, v30
	;;#ASMEND
	;;#ASMSTART
	v_dot2_f32_f16 v30, v69, v65, v30
	;;#ASMEND
	;; [unrolled: 3-line block ×4, first 2 shown]
	s_waitcnt lgkmcnt(0)
	;;#ASMSTART
	v_dot2_f32_f16 v3, v68, v84, v3
	;;#ASMEND
	;;#ASMSTART
	v_dot2_f32_f16 v3, v69, v85, v3
	;;#ASMEND
	;; [unrolled: 3-line block ×28, first 2 shown]
	ds_read_b128 v[64:67], v36 offset:224
	ds_read_b128 v[68:71], v35 offset:96
	;; [unrolled: 1-line block ×6, first 2 shown]
	s_waitcnt lgkmcnt(4)
	;;#ASMSTART
	v_dot2_f32_f16 v30, v68, v64, v30
	;;#ASMEND
	;;#ASMSTART
	v_dot2_f32_f16 v30, v69, v65, v30
	;;#ASMEND
	;; [unrolled: 3-line block ×4, first 2 shown]
	s_waitcnt lgkmcnt(0)
	;;#ASMSTART
	v_dot2_f32_f16 v3, v68, v84, v3
	;;#ASMEND
	;;#ASMSTART
	v_dot2_f32_f16 v3, v69, v85, v3
	;;#ASMEND
	;; [unrolled: 3-line block ×28, first 2 shown]
	ds_read_b128 v[64:67], v36 offset:240
	ds_read_b128 v[68:71], v35 offset:112
	;; [unrolled: 1-line block ×6, first 2 shown]
	s_waitcnt lgkmcnt(4)
	;;#ASMSTART
	v_dot2_f32_f16 v30, v68, v64, v30
	;;#ASMEND
	;;#ASMSTART
	v_dot2_f32_f16 v30, v69, v65, v30
	;;#ASMEND
	;; [unrolled: 3-line block ×4, first 2 shown]
	s_waitcnt lgkmcnt(0)
	;;#ASMSTART
	v_dot2_f32_f16 v3, v68, v84, v3
	;;#ASMEND
	;;#ASMSTART
	v_dot2_f32_f16 v3, v69, v85, v3
	;;#ASMEND
	;; [unrolled: 3-line block ×28, first 2 shown]
	s_barrier
	global_load_dwordx4 v[64:67], v[26:27], off offset:256
	global_load_dwordx4 v[68:71], v[28:29], off offset:256
	s_waitcnt vmcnt(1)
	ds_write_b128 v25, v[64:67]
	s_waitcnt vmcnt(0)
	ds_write_b128 v34, v[68:71]
	s_waitcnt lgkmcnt(0)
	s_barrier
	ds_read_b128 v[64:67], v36 offset:256
	ds_read_b128 v[68:71], v35
	ds_read_b128 v[72:75], v35 offset:4608
	ds_read_b128 v[76:79], v35 offset:9216
	ds_read_b128 v[80:83], v35 offset:13824
	ds_read_b128 v[84:87], v36 offset:1280
	s_waitcnt lgkmcnt(4)
	;;#ASMSTART
	v_dot2_f32_f16 v30, v68, v64, v30
	;;#ASMEND
	;;#ASMSTART
	v_dot2_f32_f16 v30, v69, v65, v30
	;;#ASMEND
	;; [unrolled: 3-line block ×4, first 2 shown]
	s_waitcnt lgkmcnt(0)
	;;#ASMSTART
	v_dot2_f32_f16 v3, v68, v84, v3
	;;#ASMEND
	;;#ASMSTART
	v_dot2_f32_f16 v3, v69, v85, v3
	;;#ASMEND
	;;#ASMSTART
	v_dot2_f32_f16 v3, v70, v86, v3
	;;#ASMEND
	;;#ASMSTART
	v_dot2_f32_f16 v3, v71, v87, v3
	;;#ASMEND
	;;#ASMSTART
	v_dot2_f32_f16 v31, v72, v64, v31
	;;#ASMEND
	;;#ASMSTART
	v_dot2_f32_f16 v31, v73, v65, v31
	;;#ASMEND
	;;#ASMSTART
	v_dot2_f32_f16 v31, v74, v66, v31
	;;#ASMEND
	;;#ASMSTART
	v_dot2_f32_f16 v31, v75, v67, v31
	;;#ASMEND
	;;#ASMSTART
	v_dot2_f32_f16 v32, v72, v84, v32
	;;#ASMEND
	;;#ASMSTART
	v_dot2_f32_f16 v32, v73, v85, v32
	;;#ASMEND
	;;#ASMSTART
	v_dot2_f32_f16 v32, v74, v86, v32
	;;#ASMEND
	;;#ASMSTART
	v_dot2_f32_f16 v32, v75, v87, v32
	;;#ASMEND
	;;#ASMSTART
	v_dot2_f32_f16 v62, v76, v64, v62
	;;#ASMEND
	;;#ASMSTART
	v_dot2_f32_f16 v62, v77, v65, v62
	;;#ASMEND
	;;#ASMSTART
	v_dot2_f32_f16 v62, v78, v66, v62
	;;#ASMEND
	;;#ASMSTART
	v_dot2_f32_f16 v62, v79, v67, v62
	;;#ASMEND
	;;#ASMSTART
	v_dot2_f32_f16 v33, v76, v84, v33
	;;#ASMEND
	;;#ASMSTART
	v_dot2_f32_f16 v33, v77, v85, v33
	;;#ASMEND
	;;#ASMSTART
	v_dot2_f32_f16 v33, v78, v86, v33
	;;#ASMEND
	;;#ASMSTART
	v_dot2_f32_f16 v33, v79, v87, v33
	;;#ASMEND
	;;#ASMSTART
	v_dot2_f32_f16 v63, v80, v64, v63
	;;#ASMEND
	;;#ASMSTART
	v_dot2_f32_f16 v63, v81, v65, v63
	;;#ASMEND
	;;#ASMSTART
	v_dot2_f32_f16 v63, v82, v66, v63
	;;#ASMEND
	;;#ASMSTART
	v_dot2_f32_f16 v63, v83, v67, v63
	;;#ASMEND
	;;#ASMSTART
	v_dot2_f32_f16 v61, v80, v84, v61
	;;#ASMEND
	;;#ASMSTART
	v_dot2_f32_f16 v61, v81, v85, v61
	;;#ASMEND
	;;#ASMSTART
	v_dot2_f32_f16 v61, v82, v86, v61
	;;#ASMEND
	;;#ASMSTART
	v_dot2_f32_f16 v61, v83, v87, v61
	;;#ASMEND
	ds_read_b128 v[64:67], v36 offset:272
	ds_read_b128 v[68:71], v35 offset:16
	;; [unrolled: 1-line block ×6, first 2 shown]
	s_waitcnt lgkmcnt(4)
	;;#ASMSTART
	v_dot2_f32_f16 v30, v68, v64, v30
	;;#ASMEND
	;;#ASMSTART
	v_dot2_f32_f16 v30, v69, v65, v30
	;;#ASMEND
	;; [unrolled: 3-line block ×4, first 2 shown]
	s_waitcnt lgkmcnt(0)
	;;#ASMSTART
	v_dot2_f32_f16 v3, v68, v84, v3
	;;#ASMEND
	;;#ASMSTART
	v_dot2_f32_f16 v3, v69, v85, v3
	;;#ASMEND
	;; [unrolled: 3-line block ×28, first 2 shown]
	ds_read_b128 v[64:67], v36 offset:288
	ds_read_b128 v[68:71], v35 offset:32
	;; [unrolled: 1-line block ×6, first 2 shown]
	s_waitcnt lgkmcnt(4)
	;;#ASMSTART
	v_dot2_f32_f16 v30, v68, v64, v30
	;;#ASMEND
	;;#ASMSTART
	v_dot2_f32_f16 v30, v69, v65, v30
	;;#ASMEND
	;; [unrolled: 3-line block ×4, first 2 shown]
	s_waitcnt lgkmcnt(0)
	;;#ASMSTART
	v_dot2_f32_f16 v3, v68, v84, v3
	;;#ASMEND
	;;#ASMSTART
	v_dot2_f32_f16 v3, v69, v85, v3
	;;#ASMEND
	;; [unrolled: 3-line block ×28, first 2 shown]
	ds_read_b128 v[64:67], v36 offset:304
	ds_read_b128 v[68:71], v35 offset:48
	;; [unrolled: 1-line block ×6, first 2 shown]
	s_waitcnt lgkmcnt(4)
	;;#ASMSTART
	v_dot2_f32_f16 v30, v68, v64, v30
	;;#ASMEND
	;;#ASMSTART
	v_dot2_f32_f16 v30, v69, v65, v30
	;;#ASMEND
	;; [unrolled: 3-line block ×4, first 2 shown]
	s_waitcnt lgkmcnt(0)
	;;#ASMSTART
	v_dot2_f32_f16 v3, v68, v84, v3
	;;#ASMEND
	;;#ASMSTART
	v_dot2_f32_f16 v3, v69, v85, v3
	;;#ASMEND
	;; [unrolled: 3-line block ×28, first 2 shown]
	ds_read_b128 v[64:67], v36 offset:320
	ds_read_b128 v[68:71], v35 offset:64
	;; [unrolled: 1-line block ×6, first 2 shown]
	s_waitcnt lgkmcnt(4)
	;;#ASMSTART
	v_dot2_f32_f16 v30, v68, v64, v30
	;;#ASMEND
	;;#ASMSTART
	v_dot2_f32_f16 v30, v69, v65, v30
	;;#ASMEND
	;; [unrolled: 3-line block ×4, first 2 shown]
	s_waitcnt lgkmcnt(0)
	;;#ASMSTART
	v_dot2_f32_f16 v3, v68, v84, v3
	;;#ASMEND
	;;#ASMSTART
	v_dot2_f32_f16 v3, v69, v85, v3
	;;#ASMEND
	;; [unrolled: 3-line block ×28, first 2 shown]
	ds_read_b128 v[64:67], v36 offset:336
	ds_read_b128 v[68:71], v35 offset:80
	;; [unrolled: 1-line block ×6, first 2 shown]
	s_waitcnt lgkmcnt(4)
	;;#ASMSTART
	v_dot2_f32_f16 v30, v68, v64, v30
	;;#ASMEND
	;;#ASMSTART
	v_dot2_f32_f16 v30, v69, v65, v30
	;;#ASMEND
	;; [unrolled: 3-line block ×4, first 2 shown]
	s_waitcnt lgkmcnt(0)
	;;#ASMSTART
	v_dot2_f32_f16 v3, v68, v84, v3
	;;#ASMEND
	;;#ASMSTART
	v_dot2_f32_f16 v3, v69, v85, v3
	;;#ASMEND
	;; [unrolled: 3-line block ×28, first 2 shown]
	ds_read_b128 v[64:67], v36 offset:352
	ds_read_b128 v[68:71], v35 offset:96
	;; [unrolled: 1-line block ×6, first 2 shown]
	s_waitcnt lgkmcnt(4)
	;;#ASMSTART
	v_dot2_f32_f16 v30, v68, v64, v30
	;;#ASMEND
	;;#ASMSTART
	v_dot2_f32_f16 v30, v69, v65, v30
	;;#ASMEND
	;; [unrolled: 3-line block ×4, first 2 shown]
	s_waitcnt lgkmcnt(0)
	;;#ASMSTART
	v_dot2_f32_f16 v3, v68, v84, v3
	;;#ASMEND
	;;#ASMSTART
	v_dot2_f32_f16 v3, v69, v85, v3
	;;#ASMEND
	;; [unrolled: 3-line block ×28, first 2 shown]
	ds_read_b128 v[64:67], v36 offset:368
	ds_read_b128 v[68:71], v35 offset:112
	ds_read_b128 v[72:75], v43 offset:4608
	ds_read_b128 v[76:79], v43 offset:9216
	ds_read_b128 v[80:83], v43 offset:13824
	ds_read_b128 v[84:87], v36 offset:1392
	s_waitcnt lgkmcnt(4)
	;;#ASMSTART
	v_dot2_f32_f16 v30, v68, v64, v30
	;;#ASMEND
	;;#ASMSTART
	v_dot2_f32_f16 v30, v69, v65, v30
	;;#ASMEND
	;; [unrolled: 3-line block ×4, first 2 shown]
	s_waitcnt lgkmcnt(0)
	;;#ASMSTART
	v_dot2_f32_f16 v3, v68, v84, v3
	;;#ASMEND
	;;#ASMSTART
	v_dot2_f32_f16 v3, v69, v85, v3
	;;#ASMEND
	;; [unrolled: 3-line block ×28, first 2 shown]
	s_barrier
	global_load_dwordx4 v[64:67], v[26:27], off offset:384
	global_load_dwordx4 v[68:71], v[28:29], off offset:384
	s_waitcnt vmcnt(1)
	ds_write_b128 v25, v[64:67]
	s_waitcnt vmcnt(0)
	ds_write_b128 v34, v[68:71]
	s_waitcnt lgkmcnt(0)
	s_barrier
	ds_read_b128 v[64:67], v36 offset:384
	ds_read_b128 v[68:71], v35
	ds_read_b128 v[72:75], v35 offset:4608
	ds_read_b128 v[76:79], v35 offset:9216
	;; [unrolled: 1-line block ×4, first 2 shown]
	s_waitcnt lgkmcnt(4)
	;;#ASMSTART
	v_dot2_f32_f16 v30, v68, v64, v30
	;;#ASMEND
	;;#ASMSTART
	v_dot2_f32_f16 v30, v69, v65, v30
	;;#ASMEND
	;; [unrolled: 3-line block ×4, first 2 shown]
	s_waitcnt lgkmcnt(0)
	;;#ASMSTART
	v_dot2_f32_f16 v3, v68, v84, v3
	;;#ASMEND
	;;#ASMSTART
	v_dot2_f32_f16 v3, v69, v85, v3
	;;#ASMEND
	;;#ASMSTART
	v_dot2_f32_f16 v3, v70, v86, v3
	;;#ASMEND
	;;#ASMSTART
	v_dot2_f32_f16 v3, v71, v87, v3
	;;#ASMEND
	;;#ASMSTART
	v_dot2_f32_f16 v31, v72, v64, v31
	;;#ASMEND
	;;#ASMSTART
	v_dot2_f32_f16 v31, v73, v65, v31
	;;#ASMEND
	;;#ASMSTART
	v_dot2_f32_f16 v31, v74, v66, v31
	;;#ASMEND
	;;#ASMSTART
	v_dot2_f32_f16 v31, v75, v67, v31
	;;#ASMEND
	;;#ASMSTART
	v_dot2_f32_f16 v32, v72, v84, v32
	;;#ASMEND
	;;#ASMSTART
	v_dot2_f32_f16 v32, v73, v85, v32
	;;#ASMEND
	;;#ASMSTART
	v_dot2_f32_f16 v32, v74, v86, v32
	;;#ASMEND
	;;#ASMSTART
	v_dot2_f32_f16 v32, v75, v87, v32
	;;#ASMEND
	;;#ASMSTART
	v_dot2_f32_f16 v62, v76, v64, v62
	;;#ASMEND
	;;#ASMSTART
	v_dot2_f32_f16 v62, v77, v65, v62
	;;#ASMEND
	;;#ASMSTART
	v_dot2_f32_f16 v62, v78, v66, v62
	;;#ASMEND
	;;#ASMSTART
	v_dot2_f32_f16 v62, v79, v67, v62
	;;#ASMEND
	;;#ASMSTART
	v_dot2_f32_f16 v33, v76, v84, v33
	;;#ASMEND
	;;#ASMSTART
	v_dot2_f32_f16 v33, v77, v85, v33
	;;#ASMEND
	;;#ASMSTART
	v_dot2_f32_f16 v33, v78, v86, v33
	;;#ASMEND
	;;#ASMSTART
	v_dot2_f32_f16 v33, v79, v87, v33
	;;#ASMEND
	;;#ASMSTART
	v_dot2_f32_f16 v63, v80, v64, v63
	;;#ASMEND
	;;#ASMSTART
	v_dot2_f32_f16 v63, v81, v65, v63
	;;#ASMEND
	;;#ASMSTART
	v_dot2_f32_f16 v63, v82, v66, v63
	;;#ASMEND
	;;#ASMSTART
	v_dot2_f32_f16 v63, v83, v67, v63
	;;#ASMEND
	;;#ASMSTART
	v_dot2_f32_f16 v61, v80, v84, v61
	;;#ASMEND
	;;#ASMSTART
	v_dot2_f32_f16 v61, v81, v85, v61
	;;#ASMEND
	;;#ASMSTART
	v_dot2_f32_f16 v61, v82, v86, v61
	;;#ASMEND
	;;#ASMSTART
	v_dot2_f32_f16 v61, v83, v87, v61
	;;#ASMEND
	ds_read_b128 v[64:67], v36 offset:400
	ds_read_b128 v[68:71], v35 offset:16
	;; [unrolled: 1-line block ×6, first 2 shown]
	s_waitcnt lgkmcnt(4)
	;;#ASMSTART
	v_dot2_f32_f16 v30, v68, v64, v30
	;;#ASMEND
	;;#ASMSTART
	v_dot2_f32_f16 v30, v69, v65, v30
	;;#ASMEND
	;; [unrolled: 3-line block ×4, first 2 shown]
	s_waitcnt lgkmcnt(0)
	;;#ASMSTART
	v_dot2_f32_f16 v3, v68, v84, v3
	;;#ASMEND
	;;#ASMSTART
	v_dot2_f32_f16 v3, v69, v85, v3
	;;#ASMEND
	;; [unrolled: 3-line block ×28, first 2 shown]
	ds_read_b128 v[64:67], v36 offset:416
	ds_read_b128 v[68:71], v35 offset:32
	;; [unrolled: 1-line block ×6, first 2 shown]
	s_waitcnt lgkmcnt(4)
	;;#ASMSTART
	v_dot2_f32_f16 v30, v68, v64, v30
	;;#ASMEND
	;;#ASMSTART
	v_dot2_f32_f16 v30, v69, v65, v30
	;;#ASMEND
	;; [unrolled: 3-line block ×4, first 2 shown]
	s_waitcnt lgkmcnt(0)
	;;#ASMSTART
	v_dot2_f32_f16 v3, v68, v84, v3
	;;#ASMEND
	;;#ASMSTART
	v_dot2_f32_f16 v3, v69, v85, v3
	;;#ASMEND
	;; [unrolled: 3-line block ×28, first 2 shown]
	ds_read_b128 v[64:67], v36 offset:432
	ds_read_b128 v[68:71], v35 offset:48
	;; [unrolled: 1-line block ×6, first 2 shown]
	s_waitcnt lgkmcnt(4)
	;;#ASMSTART
	v_dot2_f32_f16 v30, v68, v64, v30
	;;#ASMEND
	;;#ASMSTART
	v_dot2_f32_f16 v30, v69, v65, v30
	;;#ASMEND
	;; [unrolled: 3-line block ×4, first 2 shown]
	s_waitcnt lgkmcnt(0)
	;;#ASMSTART
	v_dot2_f32_f16 v3, v68, v84, v3
	;;#ASMEND
	;;#ASMSTART
	v_dot2_f32_f16 v3, v69, v85, v3
	;;#ASMEND
	;; [unrolled: 3-line block ×28, first 2 shown]
	ds_read_b128 v[64:67], v36 offset:448
	ds_read_b128 v[68:71], v35 offset:64
	;; [unrolled: 1-line block ×6, first 2 shown]
	s_waitcnt lgkmcnt(4)
	;;#ASMSTART
	v_dot2_f32_f16 v30, v68, v64, v30
	;;#ASMEND
	;;#ASMSTART
	v_dot2_f32_f16 v30, v69, v65, v30
	;;#ASMEND
	;; [unrolled: 3-line block ×4, first 2 shown]
	s_waitcnt lgkmcnt(0)
	;;#ASMSTART
	v_dot2_f32_f16 v3, v68, v84, v3
	;;#ASMEND
	;;#ASMSTART
	v_dot2_f32_f16 v3, v69, v85, v3
	;;#ASMEND
	;;#ASMSTART
	v_dot2_f32_f16 v3, v70, v86, v3
	;;#ASMEND
	;;#ASMSTART
	v_dot2_f32_f16 v3, v71, v87, v3
	;;#ASMEND
	;;#ASMSTART
	v_dot2_f32_f16 v31, v72, v64, v31
	;;#ASMEND
	;;#ASMSTART
	v_dot2_f32_f16 v31, v73, v65, v31
	;;#ASMEND
	;;#ASMSTART
	v_dot2_f32_f16 v31, v74, v66, v31
	;;#ASMEND
	;;#ASMSTART
	v_dot2_f32_f16 v31, v75, v67, v31
	;;#ASMEND
	;;#ASMSTART
	v_dot2_f32_f16 v32, v72, v84, v32
	;;#ASMEND
	;;#ASMSTART
	v_dot2_f32_f16 v32, v73, v85, v32
	;;#ASMEND
	;;#ASMSTART
	v_dot2_f32_f16 v32, v74, v86, v32
	;;#ASMEND
	;;#ASMSTART
	v_dot2_f32_f16 v32, v75, v87, v32
	;;#ASMEND
	;;#ASMSTART
	v_dot2_f32_f16 v62, v76, v64, v62
	;;#ASMEND
	;;#ASMSTART
	v_dot2_f32_f16 v62, v77, v65, v62
	;;#ASMEND
	;;#ASMSTART
	v_dot2_f32_f16 v62, v78, v66, v62
	;;#ASMEND
	;;#ASMSTART
	v_dot2_f32_f16 v62, v79, v67, v62
	;;#ASMEND
	;;#ASMSTART
	v_dot2_f32_f16 v33, v76, v84, v33
	;;#ASMEND
	;;#ASMSTART
	v_dot2_f32_f16 v33, v77, v85, v33
	;;#ASMEND
	;;#ASMSTART
	v_dot2_f32_f16 v33, v78, v86, v33
	;;#ASMEND
	;;#ASMSTART
	v_dot2_f32_f16 v33, v79, v87, v33
	;;#ASMEND
	;;#ASMSTART
	v_dot2_f32_f16 v63, v80, v64, v63
	;;#ASMEND
	;;#ASMSTART
	v_dot2_f32_f16 v63, v81, v65, v63
	;;#ASMEND
	;;#ASMSTART
	v_dot2_f32_f16 v63, v82, v66, v63
	;;#ASMEND
	;;#ASMSTART
	v_dot2_f32_f16 v63, v83, v67, v63
	;;#ASMEND
	;;#ASMSTART
	v_dot2_f32_f16 v61, v80, v84, v61
	;;#ASMEND
	;;#ASMSTART
	v_dot2_f32_f16 v61, v81, v85, v61
	;;#ASMEND
	;;#ASMSTART
	v_dot2_f32_f16 v61, v82, v86, v61
	;;#ASMEND
	;;#ASMSTART
	v_dot2_f32_f16 v61, v83, v87, v61
	;;#ASMEND
	ds_read_b128 v[64:67], v36 offset:464
	ds_read_b128 v[68:71], v35 offset:80
	;; [unrolled: 1-line block ×6, first 2 shown]
	s_waitcnt lgkmcnt(4)
	;;#ASMSTART
	v_dot2_f32_f16 v30, v68, v64, v30
	;;#ASMEND
	;;#ASMSTART
	v_dot2_f32_f16 v30, v69, v65, v30
	;;#ASMEND
	;;#ASMSTART
	v_dot2_f32_f16 v30, v70, v66, v30
	;;#ASMEND
	;;#ASMSTART
	v_dot2_f32_f16 v30, v71, v67, v30
	;;#ASMEND
	s_waitcnt lgkmcnt(0)
	;;#ASMSTART
	v_dot2_f32_f16 v3, v68, v84, v3
	;;#ASMEND
	;;#ASMSTART
	v_dot2_f32_f16 v3, v69, v85, v3
	;;#ASMEND
	;; [unrolled: 3-line block ×28, first 2 shown]
	ds_read_b128 v[64:67], v36 offset:480
	ds_read_b128 v[68:71], v35 offset:96
	;; [unrolled: 1-line block ×6, first 2 shown]
	s_waitcnt lgkmcnt(4)
	;;#ASMSTART
	v_dot2_f32_f16 v30, v68, v64, v30
	;;#ASMEND
	;;#ASMSTART
	v_dot2_f32_f16 v30, v69, v65, v30
	;;#ASMEND
	;; [unrolled: 3-line block ×4, first 2 shown]
	s_waitcnt lgkmcnt(0)
	;;#ASMSTART
	v_dot2_f32_f16 v3, v68, v84, v3
	;;#ASMEND
	;;#ASMSTART
	v_dot2_f32_f16 v3, v69, v85, v3
	;;#ASMEND
	;; [unrolled: 3-line block ×28, first 2 shown]
	ds_read_b128 v[64:67], v36 offset:496
	ds_read_b128 v[68:71], v35 offset:112
	;; [unrolled: 1-line block ×6, first 2 shown]
	s_waitcnt lgkmcnt(4)
	;;#ASMSTART
	v_dot2_f32_f16 v30, v68, v64, v30
	;;#ASMEND
	;;#ASMSTART
	v_dot2_f32_f16 v30, v69, v65, v30
	;;#ASMEND
	;; [unrolled: 3-line block ×4, first 2 shown]
	s_waitcnt lgkmcnt(0)
	;;#ASMSTART
	v_dot2_f32_f16 v3, v68, v84, v3
	;;#ASMEND
	;;#ASMSTART
	v_dot2_f32_f16 v3, v69, v85, v3
	;;#ASMEND
	;; [unrolled: 3-line block ×28, first 2 shown]
	s_barrier
	global_load_dwordx4 v[64:67], v[26:27], off offset:512
	global_load_dwordx4 v[68:71], v[28:29], off offset:512
	s_waitcnt vmcnt(1)
	ds_write_b128 v25, v[64:67]
	s_waitcnt vmcnt(0)
	ds_write_b128 v34, v[68:71]
	s_waitcnt lgkmcnt(0)
	s_barrier
	ds_read_b128 v[64:67], v36 offset:512
	ds_read_b128 v[68:71], v35
	ds_read_b128 v[72:75], v35 offset:4608
	ds_read_b128 v[76:79], v35 offset:9216
	;; [unrolled: 1-line block ×4, first 2 shown]
	s_waitcnt lgkmcnt(4)
	;;#ASMSTART
	v_dot2_f32_f16 v30, v68, v64, v30
	;;#ASMEND
	;;#ASMSTART
	v_dot2_f32_f16 v30, v69, v65, v30
	;;#ASMEND
	;; [unrolled: 3-line block ×4, first 2 shown]
	s_waitcnt lgkmcnt(0)
	;;#ASMSTART
	v_dot2_f32_f16 v3, v68, v84, v3
	;;#ASMEND
	;;#ASMSTART
	v_dot2_f32_f16 v3, v69, v85, v3
	;;#ASMEND
	;; [unrolled: 3-line block ×28, first 2 shown]
	ds_read_b128 v[64:67], v36 offset:528
	ds_read_b128 v[68:71], v35 offset:16
	;; [unrolled: 1-line block ×6, first 2 shown]
	s_waitcnt lgkmcnt(4)
	;;#ASMSTART
	v_dot2_f32_f16 v30, v68, v64, v30
	;;#ASMEND
	;;#ASMSTART
	v_dot2_f32_f16 v30, v69, v65, v30
	;;#ASMEND
	;;#ASMSTART
	v_dot2_f32_f16 v30, v70, v66, v30
	;;#ASMEND
	;;#ASMSTART
	v_dot2_f32_f16 v30, v71, v67, v30
	;;#ASMEND
	s_waitcnt lgkmcnt(0)
	;;#ASMSTART
	v_dot2_f32_f16 v3, v68, v84, v3
	;;#ASMEND
	;;#ASMSTART
	v_dot2_f32_f16 v3, v69, v85, v3
	;;#ASMEND
	;; [unrolled: 3-line block ×28, first 2 shown]
	ds_read_b128 v[64:67], v36 offset:544
	ds_read_b128 v[68:71], v35 offset:32
	;; [unrolled: 1-line block ×6, first 2 shown]
	s_waitcnt lgkmcnt(4)
	;;#ASMSTART
	v_dot2_f32_f16 v30, v68, v64, v30
	;;#ASMEND
	;;#ASMSTART
	v_dot2_f32_f16 v30, v69, v65, v30
	;;#ASMEND
	;; [unrolled: 3-line block ×4, first 2 shown]
	s_waitcnt lgkmcnt(0)
	;;#ASMSTART
	v_dot2_f32_f16 v3, v68, v84, v3
	;;#ASMEND
	;;#ASMSTART
	v_dot2_f32_f16 v3, v69, v85, v3
	;;#ASMEND
	;; [unrolled: 3-line block ×28, first 2 shown]
	ds_read_b128 v[64:67], v36 offset:560
	ds_read_b128 v[68:71], v35 offset:48
	;; [unrolled: 1-line block ×6, first 2 shown]
	s_waitcnt lgkmcnt(4)
	;;#ASMSTART
	v_dot2_f32_f16 v30, v68, v64, v30
	;;#ASMEND
	;;#ASMSTART
	v_dot2_f32_f16 v30, v69, v65, v30
	;;#ASMEND
	;; [unrolled: 3-line block ×4, first 2 shown]
	s_waitcnt lgkmcnt(0)
	;;#ASMSTART
	v_dot2_f32_f16 v3, v68, v84, v3
	;;#ASMEND
	;;#ASMSTART
	v_dot2_f32_f16 v3, v69, v85, v3
	;;#ASMEND
	;; [unrolled: 3-line block ×28, first 2 shown]
	ds_read_b128 v[64:67], v36 offset:576
	ds_read_b128 v[68:71], v35 offset:64
	;; [unrolled: 1-line block ×6, first 2 shown]
	s_waitcnt lgkmcnt(4)
	;;#ASMSTART
	v_dot2_f32_f16 v30, v68, v64, v30
	;;#ASMEND
	;;#ASMSTART
	v_dot2_f32_f16 v30, v69, v65, v30
	;;#ASMEND
	;; [unrolled: 3-line block ×4, first 2 shown]
	s_waitcnt lgkmcnt(0)
	;;#ASMSTART
	v_dot2_f32_f16 v3, v68, v84, v3
	;;#ASMEND
	;;#ASMSTART
	v_dot2_f32_f16 v3, v69, v85, v3
	;;#ASMEND
	;; [unrolled: 3-line block ×28, first 2 shown]
	ds_read_b128 v[64:67], v36 offset:592
	ds_read_b128 v[68:71], v35 offset:80
	ds_read_b128 v[72:75], v41 offset:4608
	ds_read_b128 v[76:79], v41 offset:9216
	ds_read_b128 v[80:83], v41 offset:13824
	ds_read_b128 v[84:87], v36 offset:1616
	s_waitcnt lgkmcnt(4)
	;;#ASMSTART
	v_dot2_f32_f16 v30, v68, v64, v30
	;;#ASMEND
	;;#ASMSTART
	v_dot2_f32_f16 v30, v69, v65, v30
	;;#ASMEND
	;; [unrolled: 3-line block ×4, first 2 shown]
	s_waitcnt lgkmcnt(0)
	;;#ASMSTART
	v_dot2_f32_f16 v3, v68, v84, v3
	;;#ASMEND
	;;#ASMSTART
	v_dot2_f32_f16 v3, v69, v85, v3
	;;#ASMEND
	;;#ASMSTART
	v_dot2_f32_f16 v3, v70, v86, v3
	;;#ASMEND
	;;#ASMSTART
	v_dot2_f32_f16 v3, v71, v87, v3
	;;#ASMEND
	;;#ASMSTART
	v_dot2_f32_f16 v31, v72, v64, v31
	;;#ASMEND
	;;#ASMSTART
	v_dot2_f32_f16 v31, v73, v65, v31
	;;#ASMEND
	;;#ASMSTART
	v_dot2_f32_f16 v31, v74, v66, v31
	;;#ASMEND
	;;#ASMSTART
	v_dot2_f32_f16 v31, v75, v67, v31
	;;#ASMEND
	;;#ASMSTART
	v_dot2_f32_f16 v32, v72, v84, v32
	;;#ASMEND
	;;#ASMSTART
	v_dot2_f32_f16 v32, v73, v85, v32
	;;#ASMEND
	;;#ASMSTART
	v_dot2_f32_f16 v32, v74, v86, v32
	;;#ASMEND
	;;#ASMSTART
	v_dot2_f32_f16 v32, v75, v87, v32
	;;#ASMEND
	;;#ASMSTART
	v_dot2_f32_f16 v62, v76, v64, v62
	;;#ASMEND
	;;#ASMSTART
	v_dot2_f32_f16 v62, v77, v65, v62
	;;#ASMEND
	;;#ASMSTART
	v_dot2_f32_f16 v62, v78, v66, v62
	;;#ASMEND
	;;#ASMSTART
	v_dot2_f32_f16 v62, v79, v67, v62
	;;#ASMEND
	;;#ASMSTART
	v_dot2_f32_f16 v33, v76, v84, v33
	;;#ASMEND
	;;#ASMSTART
	v_dot2_f32_f16 v33, v77, v85, v33
	;;#ASMEND
	;;#ASMSTART
	v_dot2_f32_f16 v33, v78, v86, v33
	;;#ASMEND
	;;#ASMSTART
	v_dot2_f32_f16 v33, v79, v87, v33
	;;#ASMEND
	;;#ASMSTART
	v_dot2_f32_f16 v63, v80, v64, v63
	;;#ASMEND
	;;#ASMSTART
	v_dot2_f32_f16 v63, v81, v65, v63
	;;#ASMEND
	;;#ASMSTART
	v_dot2_f32_f16 v63, v82, v66, v63
	;;#ASMEND
	;;#ASMSTART
	v_dot2_f32_f16 v63, v83, v67, v63
	;;#ASMEND
	;;#ASMSTART
	v_dot2_f32_f16 v61, v80, v84, v61
	;;#ASMEND
	;;#ASMSTART
	v_dot2_f32_f16 v61, v81, v85, v61
	;;#ASMEND
	;;#ASMSTART
	v_dot2_f32_f16 v61, v82, v86, v61
	;;#ASMEND
	;;#ASMSTART
	v_dot2_f32_f16 v61, v83, v87, v61
	;;#ASMEND
	ds_read_b128 v[64:67], v36 offset:608
	ds_read_b128 v[68:71], v35 offset:96
	ds_read_b128 v[72:75], v42 offset:4608
	ds_read_b128 v[76:79], v42 offset:9216
	ds_read_b128 v[80:83], v42 offset:13824
	ds_read_b128 v[84:87], v36 offset:1632
	s_waitcnt lgkmcnt(4)
	;;#ASMSTART
	v_dot2_f32_f16 v30, v68, v64, v30
	;;#ASMEND
	;;#ASMSTART
	v_dot2_f32_f16 v30, v69, v65, v30
	;;#ASMEND
	;; [unrolled: 3-line block ×4, first 2 shown]
	s_waitcnt lgkmcnt(0)
	;;#ASMSTART
	v_dot2_f32_f16 v3, v68, v84, v3
	;;#ASMEND
	;;#ASMSTART
	v_dot2_f32_f16 v3, v69, v85, v3
	;;#ASMEND
	;; [unrolled: 3-line block ×28, first 2 shown]
	ds_read_b128 v[64:67], v36 offset:624
	ds_read_b128 v[68:71], v35 offset:112
	;; [unrolled: 1-line block ×6, first 2 shown]
	s_waitcnt lgkmcnt(4)
	;;#ASMSTART
	v_dot2_f32_f16 v30, v68, v64, v30
	;;#ASMEND
	;;#ASMSTART
	v_dot2_f32_f16 v30, v69, v65, v30
	;;#ASMEND
	;; [unrolled: 3-line block ×4, first 2 shown]
	s_waitcnt lgkmcnt(0)
	;;#ASMSTART
	v_dot2_f32_f16 v3, v68, v84, v3
	;;#ASMEND
	;;#ASMSTART
	v_dot2_f32_f16 v3, v69, v85, v3
	;;#ASMEND
	;; [unrolled: 3-line block ×28, first 2 shown]
	s_barrier
	global_load_dwordx4 v[64:67], v[26:27], off offset:640
	global_load_dwordx4 v[68:71], v[28:29], off offset:640
	s_waitcnt vmcnt(1)
	ds_write_b128 v25, v[64:67]
	s_waitcnt vmcnt(0)
	ds_write_b128 v34, v[68:71]
	s_waitcnt lgkmcnt(0)
	s_barrier
	ds_read_b128 v[64:67], v36 offset:640
	ds_read_b128 v[68:71], v35
	ds_read_b128 v[72:75], v35 offset:4608
	ds_read_b128 v[76:79], v35 offset:9216
	;; [unrolled: 1-line block ×4, first 2 shown]
	s_waitcnt lgkmcnt(4)
	;;#ASMSTART
	v_dot2_f32_f16 v30, v68, v64, v30
	;;#ASMEND
	;;#ASMSTART
	v_dot2_f32_f16 v30, v69, v65, v30
	;;#ASMEND
	;; [unrolled: 3-line block ×4, first 2 shown]
	s_waitcnt lgkmcnt(0)
	;;#ASMSTART
	v_dot2_f32_f16 v3, v68, v84, v3
	;;#ASMEND
	;;#ASMSTART
	v_dot2_f32_f16 v3, v69, v85, v3
	;;#ASMEND
	;; [unrolled: 3-line block ×28, first 2 shown]
	ds_read_b128 v[64:67], v36 offset:656
	ds_read_b128 v[68:71], v35 offset:16
	;; [unrolled: 1-line block ×6, first 2 shown]
	s_waitcnt lgkmcnt(4)
	;;#ASMSTART
	v_dot2_f32_f16 v30, v68, v64, v30
	;;#ASMEND
	;;#ASMSTART
	v_dot2_f32_f16 v30, v69, v65, v30
	;;#ASMEND
	;; [unrolled: 3-line block ×4, first 2 shown]
	s_waitcnt lgkmcnt(0)
	;;#ASMSTART
	v_dot2_f32_f16 v3, v68, v84, v3
	;;#ASMEND
	;;#ASMSTART
	v_dot2_f32_f16 v3, v69, v85, v3
	;;#ASMEND
	;; [unrolled: 3-line block ×28, first 2 shown]
	ds_read_b128 v[64:67], v36 offset:672
	ds_read_b128 v[68:71], v35 offset:32
	;; [unrolled: 1-line block ×6, first 2 shown]
	s_waitcnt lgkmcnt(4)
	;;#ASMSTART
	v_dot2_f32_f16 v30, v68, v64, v30
	;;#ASMEND
	;;#ASMSTART
	v_dot2_f32_f16 v30, v69, v65, v30
	;;#ASMEND
	;; [unrolled: 3-line block ×4, first 2 shown]
	s_waitcnt lgkmcnt(0)
	;;#ASMSTART
	v_dot2_f32_f16 v3, v68, v84, v3
	;;#ASMEND
	;;#ASMSTART
	v_dot2_f32_f16 v3, v69, v85, v3
	;;#ASMEND
	;; [unrolled: 3-line block ×28, first 2 shown]
	ds_read_b128 v[64:67], v36 offset:688
	ds_read_b128 v[68:71], v35 offset:48
	;; [unrolled: 1-line block ×6, first 2 shown]
	s_waitcnt lgkmcnt(4)
	;;#ASMSTART
	v_dot2_f32_f16 v30, v68, v64, v30
	;;#ASMEND
	;;#ASMSTART
	v_dot2_f32_f16 v30, v69, v65, v30
	;;#ASMEND
	;; [unrolled: 3-line block ×4, first 2 shown]
	s_waitcnt lgkmcnt(0)
	;;#ASMSTART
	v_dot2_f32_f16 v3, v68, v84, v3
	;;#ASMEND
	;;#ASMSTART
	v_dot2_f32_f16 v3, v69, v85, v3
	;;#ASMEND
	;; [unrolled: 3-line block ×28, first 2 shown]
	ds_read_b128 v[64:67], v36 offset:704
	ds_read_b128 v[68:71], v35 offset:64
	;; [unrolled: 1-line block ×6, first 2 shown]
	s_waitcnt lgkmcnt(4)
	;;#ASMSTART
	v_dot2_f32_f16 v30, v68, v64, v30
	;;#ASMEND
	;;#ASMSTART
	v_dot2_f32_f16 v30, v69, v65, v30
	;;#ASMEND
	;;#ASMSTART
	v_dot2_f32_f16 v30, v70, v66, v30
	;;#ASMEND
	;;#ASMSTART
	v_dot2_f32_f16 v30, v71, v67, v30
	;;#ASMEND
	s_waitcnt lgkmcnt(0)
	;;#ASMSTART
	v_dot2_f32_f16 v3, v68, v84, v3
	;;#ASMEND
	;;#ASMSTART
	v_dot2_f32_f16 v3, v69, v85, v3
	;;#ASMEND
	;; [unrolled: 3-line block ×28, first 2 shown]
	ds_read_b128 v[64:67], v36 offset:720
	ds_read_b128 v[68:71], v35 offset:80
	;; [unrolled: 1-line block ×6, first 2 shown]
	s_waitcnt lgkmcnt(4)
	;;#ASMSTART
	v_dot2_f32_f16 v30, v68, v64, v30
	;;#ASMEND
	;;#ASMSTART
	v_dot2_f32_f16 v30, v69, v65, v30
	;;#ASMEND
	;; [unrolled: 3-line block ×4, first 2 shown]
	s_waitcnt lgkmcnt(0)
	;;#ASMSTART
	v_dot2_f32_f16 v3, v68, v84, v3
	;;#ASMEND
	;;#ASMSTART
	v_dot2_f32_f16 v3, v69, v85, v3
	;;#ASMEND
	;; [unrolled: 3-line block ×28, first 2 shown]
	ds_read_b128 v[64:67], v36 offset:736
	ds_read_b128 v[68:71], v35 offset:96
	;; [unrolled: 1-line block ×6, first 2 shown]
	s_waitcnt lgkmcnt(4)
	;;#ASMSTART
	v_dot2_f32_f16 v30, v68, v64, v30
	;;#ASMEND
	;;#ASMSTART
	v_dot2_f32_f16 v30, v69, v65, v30
	;;#ASMEND
	;; [unrolled: 3-line block ×4, first 2 shown]
	s_waitcnt lgkmcnt(0)
	;;#ASMSTART
	v_dot2_f32_f16 v3, v68, v84, v3
	;;#ASMEND
	;;#ASMSTART
	v_dot2_f32_f16 v3, v69, v85, v3
	;;#ASMEND
	;; [unrolled: 3-line block ×28, first 2 shown]
	ds_read_b128 v[64:67], v36 offset:752
	ds_read_b128 v[68:71], v35 offset:112
	;; [unrolled: 1-line block ×6, first 2 shown]
	s_waitcnt lgkmcnt(4)
	;;#ASMSTART
	v_dot2_f32_f16 v30, v68, v64, v30
	;;#ASMEND
	;;#ASMSTART
	v_dot2_f32_f16 v30, v69, v65, v30
	;;#ASMEND
	;; [unrolled: 3-line block ×4, first 2 shown]
	s_waitcnt lgkmcnt(0)
	;;#ASMSTART
	v_dot2_f32_f16 v3, v68, v84, v3
	;;#ASMEND
	;;#ASMSTART
	v_dot2_f32_f16 v3, v69, v85, v3
	;;#ASMEND
	;; [unrolled: 3-line block ×28, first 2 shown]
	s_barrier
	global_load_dwordx4 v[64:67], v[26:27], off offset:768
	global_load_dwordx4 v[68:71], v[28:29], off offset:768
	s_waitcnt vmcnt(1)
	ds_write_b128 v25, v[64:67]
	s_waitcnt vmcnt(0)
	ds_write_b128 v34, v[68:71]
	s_waitcnt lgkmcnt(0)
	s_barrier
	ds_read_b128 v[64:67], v36 offset:768
	ds_read_b128 v[68:71], v35
	ds_read_b128 v[72:75], v35 offset:4608
	ds_read_b128 v[76:79], v35 offset:9216
	;; [unrolled: 1-line block ×4, first 2 shown]
	s_waitcnt lgkmcnt(4)
	;;#ASMSTART
	v_dot2_f32_f16 v30, v68, v64, v30
	;;#ASMEND
	;;#ASMSTART
	v_dot2_f32_f16 v30, v69, v65, v30
	;;#ASMEND
	;; [unrolled: 3-line block ×4, first 2 shown]
	s_waitcnt lgkmcnt(0)
	;;#ASMSTART
	v_dot2_f32_f16 v3, v68, v84, v3
	;;#ASMEND
	;;#ASMSTART
	v_dot2_f32_f16 v3, v69, v85, v3
	;;#ASMEND
	;; [unrolled: 3-line block ×28, first 2 shown]
	ds_read_b128 v[64:67], v36 offset:784
	ds_read_b128 v[68:71], v35 offset:16
	;; [unrolled: 1-line block ×6, first 2 shown]
	s_waitcnt lgkmcnt(4)
	;;#ASMSTART
	v_dot2_f32_f16 v30, v68, v64, v30
	;;#ASMEND
	;;#ASMSTART
	v_dot2_f32_f16 v30, v69, v65, v30
	;;#ASMEND
	;; [unrolled: 3-line block ×4, first 2 shown]
	s_waitcnt lgkmcnt(0)
	;;#ASMSTART
	v_dot2_f32_f16 v3, v68, v84, v3
	;;#ASMEND
	;;#ASMSTART
	v_dot2_f32_f16 v3, v69, v85, v3
	;;#ASMEND
	;; [unrolled: 3-line block ×28, first 2 shown]
	ds_read_b128 v[64:67], v36 offset:800
	ds_read_b128 v[68:71], v35 offset:32
	;; [unrolled: 1-line block ×6, first 2 shown]
	s_waitcnt lgkmcnt(4)
	;;#ASMSTART
	v_dot2_f32_f16 v30, v68, v64, v30
	;;#ASMEND
	;;#ASMSTART
	v_dot2_f32_f16 v30, v69, v65, v30
	;;#ASMEND
	;; [unrolled: 3-line block ×4, first 2 shown]
	s_waitcnt lgkmcnt(0)
	;;#ASMSTART
	v_dot2_f32_f16 v3, v68, v84, v3
	;;#ASMEND
	;;#ASMSTART
	v_dot2_f32_f16 v3, v69, v85, v3
	;;#ASMEND
	;; [unrolled: 3-line block ×28, first 2 shown]
	ds_read_b128 v[64:67], v36 offset:816
	ds_read_b128 v[68:71], v35 offset:48
	;; [unrolled: 1-line block ×6, first 2 shown]
	s_waitcnt lgkmcnt(4)
	;;#ASMSTART
	v_dot2_f32_f16 v30, v68, v64, v30
	;;#ASMEND
	;;#ASMSTART
	v_dot2_f32_f16 v30, v69, v65, v30
	;;#ASMEND
	;; [unrolled: 3-line block ×4, first 2 shown]
	s_waitcnt lgkmcnt(0)
	;;#ASMSTART
	v_dot2_f32_f16 v3, v68, v84, v3
	;;#ASMEND
	;;#ASMSTART
	v_dot2_f32_f16 v3, v69, v85, v3
	;;#ASMEND
	;; [unrolled: 3-line block ×28, first 2 shown]
	ds_read_b128 v[64:67], v36 offset:832
	ds_read_b128 v[68:71], v35 offset:64
	;; [unrolled: 1-line block ×6, first 2 shown]
	s_waitcnt lgkmcnt(4)
	;;#ASMSTART
	v_dot2_f32_f16 v30, v68, v64, v30
	;;#ASMEND
	;;#ASMSTART
	v_dot2_f32_f16 v30, v69, v65, v30
	;;#ASMEND
	;; [unrolled: 3-line block ×4, first 2 shown]
	s_waitcnt lgkmcnt(0)
	;;#ASMSTART
	v_dot2_f32_f16 v3, v68, v84, v3
	;;#ASMEND
	;;#ASMSTART
	v_dot2_f32_f16 v3, v69, v85, v3
	;;#ASMEND
	;; [unrolled: 3-line block ×28, first 2 shown]
	ds_read_b128 v[64:67], v36 offset:848
	ds_read_b128 v[68:71], v35 offset:80
	;; [unrolled: 1-line block ×6, first 2 shown]
	s_waitcnt lgkmcnt(4)
	;;#ASMSTART
	v_dot2_f32_f16 v30, v68, v64, v30
	;;#ASMEND
	;;#ASMSTART
	v_dot2_f32_f16 v30, v69, v65, v30
	;;#ASMEND
	;; [unrolled: 3-line block ×4, first 2 shown]
	s_waitcnt lgkmcnt(0)
	;;#ASMSTART
	v_dot2_f32_f16 v3, v68, v84, v3
	;;#ASMEND
	;;#ASMSTART
	v_dot2_f32_f16 v3, v69, v85, v3
	;;#ASMEND
	;; [unrolled: 3-line block ×28, first 2 shown]
	ds_read_b128 v[64:67], v36 offset:864
	ds_read_b128 v[68:71], v35 offset:96
	ds_read_b128 v[72:75], v42 offset:4608
	ds_read_b128 v[76:79], v42 offset:9216
	ds_read_b128 v[80:83], v42 offset:13824
	ds_read_b128 v[84:87], v36 offset:1888
	s_waitcnt lgkmcnt(4)
	;;#ASMSTART
	v_dot2_f32_f16 v30, v68, v64, v30
	;;#ASMEND
	;;#ASMSTART
	v_dot2_f32_f16 v30, v69, v65, v30
	;;#ASMEND
	;; [unrolled: 3-line block ×4, first 2 shown]
	s_waitcnt lgkmcnt(0)
	;;#ASMSTART
	v_dot2_f32_f16 v3, v68, v84, v3
	;;#ASMEND
	;;#ASMSTART
	v_dot2_f32_f16 v3, v69, v85, v3
	;;#ASMEND
	;; [unrolled: 3-line block ×28, first 2 shown]
	ds_read_b128 v[64:67], v36 offset:880
	ds_read_b128 v[68:71], v35 offset:112
	;; [unrolled: 1-line block ×6, first 2 shown]
	s_waitcnt lgkmcnt(4)
	;;#ASMSTART
	v_dot2_f32_f16 v30, v68, v64, v30
	;;#ASMEND
	;;#ASMSTART
	v_dot2_f32_f16 v30, v69, v65, v30
	;;#ASMEND
	;; [unrolled: 3-line block ×4, first 2 shown]
	s_waitcnt lgkmcnt(0)
	;;#ASMSTART
	v_dot2_f32_f16 v3, v68, v84, v3
	;;#ASMEND
	;;#ASMSTART
	v_dot2_f32_f16 v3, v69, v85, v3
	;;#ASMEND
	;; [unrolled: 3-line block ×28, first 2 shown]
	s_barrier
	global_load_dwordx4 v[64:67], v[26:27], off offset:896
	global_load_dwordx4 v[68:71], v[28:29], off offset:896
	s_waitcnt vmcnt(1)
	ds_write_b128 v25, v[64:67]
	s_waitcnt vmcnt(0)
	ds_write_b128 v34, v[68:71]
	s_waitcnt lgkmcnt(0)
	s_barrier
	ds_read_b128 v[26:29], v36 offset:896
	ds_read_b128 v[64:67], v35
	ds_read_b128 v[68:71], v35 offset:4608
	ds_read_b128 v[72:75], v35 offset:9216
	ds_read_b128 v[76:79], v35 offset:13824
	ds_read_b128 v[80:83], v36 offset:1920
	s_waitcnt lgkmcnt(4)
	;;#ASMSTART
	v_dot2_f32_f16 v30, v64, v26, v30
	;;#ASMEND
	;;#ASMSTART
	v_dot2_f32_f16 v30, v65, v27, v30
	;;#ASMEND
	;; [unrolled: 3-line block ×4, first 2 shown]
	s_waitcnt lgkmcnt(0)
	;;#ASMSTART
	v_dot2_f32_f16 v3, v64, v80, v3
	;;#ASMEND
	;;#ASMSTART
	v_dot2_f32_f16 v3, v65, v81, v3
	;;#ASMEND
	;; [unrolled: 3-line block ×28, first 2 shown]
	ds_read_b128 v[26:29], v36 offset:912
	ds_read_b128 v[64:67], v35 offset:16
	;; [unrolled: 1-line block ×6, first 2 shown]
	s_waitcnt lgkmcnt(4)
	;;#ASMSTART
	v_dot2_f32_f16 v30, v64, v26, v30
	;;#ASMEND
	;;#ASMSTART
	v_dot2_f32_f16 v30, v65, v27, v30
	;;#ASMEND
	;; [unrolled: 3-line block ×4, first 2 shown]
	s_waitcnt lgkmcnt(0)
	;;#ASMSTART
	v_dot2_f32_f16 v3, v64, v80, v3
	;;#ASMEND
	;;#ASMSTART
	v_dot2_f32_f16 v3, v65, v81, v3
	;;#ASMEND
	;; [unrolled: 3-line block ×28, first 2 shown]
	ds_read_b128 v[26:29], v36 offset:928
	ds_read_b128 v[64:67], v35 offset:32
	ds_read_b128 v[68:71], v38 offset:4608
	ds_read_b128 v[72:75], v38 offset:9216
	ds_read_b128 v[76:79], v38 offset:13824
	ds_read_b128 v[80:83], v36 offset:1952
	s_waitcnt lgkmcnt(4)
	;;#ASMSTART
	v_dot2_f32_f16 v30, v64, v26, v30
	;;#ASMEND
	;;#ASMSTART
	v_dot2_f32_f16 v30, v65, v27, v30
	;;#ASMEND
	;; [unrolled: 3-line block ×4, first 2 shown]
	s_waitcnt lgkmcnt(0)
	;;#ASMSTART
	v_dot2_f32_f16 v3, v64, v80, v3
	;;#ASMEND
	;;#ASMSTART
	v_dot2_f32_f16 v3, v65, v81, v3
	;;#ASMEND
	;; [unrolled: 3-line block ×28, first 2 shown]
	ds_read_b128 v[26:29], v36 offset:944
	ds_read_b128 v[64:67], v35 offset:48
	;; [unrolled: 1-line block ×6, first 2 shown]
	s_waitcnt lgkmcnt(4)
	;;#ASMSTART
	v_dot2_f32_f16 v30, v64, v26, v30
	;;#ASMEND
	;;#ASMSTART
	v_dot2_f32_f16 v30, v65, v27, v30
	;;#ASMEND
	;; [unrolled: 3-line block ×4, first 2 shown]
	s_waitcnt lgkmcnt(0)
	;;#ASMSTART
	v_dot2_f32_f16 v3, v64, v80, v3
	;;#ASMEND
	;;#ASMSTART
	v_dot2_f32_f16 v3, v65, v81, v3
	;;#ASMEND
	;;#ASMSTART
	v_dot2_f32_f16 v3, v66, v82, v3
	;;#ASMEND
	;;#ASMSTART
	v_dot2_f32_f16 v3, v67, v83, v3
	;;#ASMEND
	;;#ASMSTART
	v_dot2_f32_f16 v31, v68, v26, v31
	;;#ASMEND
	;;#ASMSTART
	v_dot2_f32_f16 v31, v69, v27, v31
	;;#ASMEND
	;;#ASMSTART
	v_dot2_f32_f16 v31, v70, v28, v31
	;;#ASMEND
	;;#ASMSTART
	v_dot2_f32_f16 v31, v71, v29, v31
	;;#ASMEND
	;;#ASMSTART
	v_dot2_f32_f16 v32, v68, v80, v32
	;;#ASMEND
	;;#ASMSTART
	v_dot2_f32_f16 v32, v69, v81, v32
	;;#ASMEND
	;;#ASMSTART
	v_dot2_f32_f16 v32, v70, v82, v32
	;;#ASMEND
	;;#ASMSTART
	v_dot2_f32_f16 v32, v71, v83, v32
	;;#ASMEND
	;;#ASMSTART
	v_dot2_f32_f16 v62, v72, v26, v62
	;;#ASMEND
	;;#ASMSTART
	v_dot2_f32_f16 v62, v73, v27, v62
	;;#ASMEND
	;;#ASMSTART
	v_dot2_f32_f16 v62, v74, v28, v62
	;;#ASMEND
	;;#ASMSTART
	v_dot2_f32_f16 v62, v75, v29, v62
	;;#ASMEND
	;;#ASMSTART
	v_dot2_f32_f16 v33, v72, v80, v33
	;;#ASMEND
	;;#ASMSTART
	v_dot2_f32_f16 v33, v73, v81, v33
	;;#ASMEND
	;;#ASMSTART
	v_dot2_f32_f16 v33, v74, v82, v33
	;;#ASMEND
	;;#ASMSTART
	v_dot2_f32_f16 v33, v75, v83, v33
	;;#ASMEND
	;;#ASMSTART
	v_dot2_f32_f16 v63, v76, v26, v63
	;;#ASMEND
	;;#ASMSTART
	v_dot2_f32_f16 v63, v77, v27, v63
	;;#ASMEND
	;;#ASMSTART
	v_dot2_f32_f16 v63, v78, v28, v63
	;;#ASMEND
	;;#ASMSTART
	v_dot2_f32_f16 v63, v79, v29, v63
	;;#ASMEND
	;;#ASMSTART
	v_dot2_f32_f16 v61, v76, v80, v61
	;;#ASMEND
	;;#ASMSTART
	v_dot2_f32_f16 v61, v77, v81, v61
	;;#ASMEND
	;;#ASMSTART
	v_dot2_f32_f16 v61, v78, v82, v61
	;;#ASMEND
	;;#ASMSTART
	v_dot2_f32_f16 v61, v79, v83, v61
	;;#ASMEND
	ds_read_b128 v[26:29], v36 offset:960
	ds_read_b128 v[64:67], v35 offset:64
	;; [unrolled: 1-line block ×6, first 2 shown]
	s_waitcnt lgkmcnt(4)
	;;#ASMSTART
	v_dot2_f32_f16 v30, v64, v26, v30
	;;#ASMEND
	;;#ASMSTART
	v_dot2_f32_f16 v30, v65, v27, v30
	;;#ASMEND
	;; [unrolled: 3-line block ×4, first 2 shown]
	s_waitcnt lgkmcnt(0)
	;;#ASMSTART
	v_dot2_f32_f16 v3, v64, v80, v3
	;;#ASMEND
	;;#ASMSTART
	v_dot2_f32_f16 v3, v65, v81, v3
	;;#ASMEND
	;; [unrolled: 3-line block ×28, first 2 shown]
	ds_read_b128 v[26:29], v36 offset:976
	ds_read_b128 v[64:67], v35 offset:80
	;; [unrolled: 1-line block ×6, first 2 shown]
	s_waitcnt lgkmcnt(4)
	;;#ASMSTART
	v_dot2_f32_f16 v30, v64, v26, v30
	;;#ASMEND
	;;#ASMSTART
	v_dot2_f32_f16 v30, v65, v27, v30
	;;#ASMEND
	;;#ASMSTART
	v_dot2_f32_f16 v30, v66, v28, v30
	;;#ASMEND
	;;#ASMSTART
	v_dot2_f32_f16 v30, v67, v29, v30
	;;#ASMEND
	s_waitcnt lgkmcnt(0)
	;;#ASMSTART
	v_dot2_f32_f16 v3, v64, v80, v3
	;;#ASMEND
	;;#ASMSTART
	v_dot2_f32_f16 v3, v65, v81, v3
	;;#ASMEND
	;; [unrolled: 3-line block ×28, first 2 shown]
	ds_read_b128 v[26:29], v36 offset:992
	ds_read_b128 v[64:67], v35 offset:96
	;; [unrolled: 1-line block ×6, first 2 shown]
	s_waitcnt lgkmcnt(4)
	;;#ASMSTART
	v_dot2_f32_f16 v30, v64, v26, v30
	;;#ASMEND
	;;#ASMSTART
	v_dot2_f32_f16 v30, v65, v27, v30
	;;#ASMEND
	;; [unrolled: 3-line block ×4, first 2 shown]
	s_waitcnt lgkmcnt(0)
	;;#ASMSTART
	v_dot2_f32_f16 v3, v64, v80, v3
	;;#ASMEND
	;;#ASMSTART
	v_dot2_f32_f16 v3, v65, v81, v3
	;;#ASMEND
	;; [unrolled: 3-line block ×28, first 2 shown]
	ds_read_b128 v[26:29], v36 offset:1008
	ds_read_b128 v[64:67], v35 offset:112
	;; [unrolled: 1-line block ×6, first 2 shown]
	s_waitcnt lgkmcnt(4)
	;;#ASMSTART
	v_dot2_f32_f16 v30, v64, v26, v30
	;;#ASMEND
	;;#ASMSTART
	v_dot2_f32_f16 v30, v65, v27, v30
	;;#ASMEND
	;; [unrolled: 3-line block ×4, first 2 shown]
	s_waitcnt lgkmcnt(0)
	;;#ASMSTART
	v_dot2_f32_f16 v3, v64, v80, v3
	;;#ASMEND
	;;#ASMSTART
	v_dot2_f32_f16 v3, v65, v81, v3
	;;#ASMEND
	;; [unrolled: 3-line block ×27, first 2 shown]
	v_cmp_nlt_f32_e64 s[10:11], |v30|, s12
	;;#ASMSTART
	v_dot2_f32_f16 v61, v79, v83, v61
	;;#ASMEND
                                        ; implicit-def: $vgpr28
	s_and_saveexec_b64 s[34:35], s[10:11]
	s_xor_b64 s[10:11], exec, s[34:35]
	s_cbranch_execz .LBB29_12
; %bb.11:                               ;   in Loop: Header=BB29_10 Depth=1
	v_add_f32_e64 v26, |v30|, |v30|
	v_mul_f32_e32 v27, 0x3fb8aa3b, v26
	v_rndne_f32_e32 v28, v27
	v_sub_f32_e32 v29, v27, v28
	v_fma_f32 v27, v26, s13, -v27
	v_fmac_f32_e32 v27, 0x32a5705f, v26
	v_add_f32_e32 v27, v29, v27
	v_cvt_i32_f32_e32 v28, v28
	v_exp_f32_e32 v27, v27
	v_cmp_ngt_f32_e32 vcc, s24, v26
	v_ldexp_f32 v27, v27, v28
	v_cndmask_b32_e32 v27, 0, v27, vcc
	v_cmp_nlt_f32_e32 vcc, s25, v26
	v_cndmask_b32_e32 v26, v54, v27, vcc
	v_add_f32_e32 v26, 1.0, v26
	v_rcp_f32_e32 v26, v26
	v_fma_f32 v28, v26, -2.0, 1.0
.LBB29_12:                              ;   in Loop: Header=BB29_10 Depth=1
	s_andn2_saveexec_b64 s[10:11], s[10:11]
; %bb.13:                               ;   in Loop: Header=BB29_10 Depth=1
	v_mul_f32_e32 v26, v30, v30
	v_mov_b32_e32 v27, 0x3ca908c9
	v_fmac_f32_e32 v27, 0xbbbac73d, v26
	v_fma_f32 v27, v26, v27, v51
	v_fma_f32 v27, v26, v27, v52
	;; [unrolled: 1-line block ×3, first 2 shown]
	v_mul_f32_e64 v27, |v30|, v27
	v_fma_f32 v28, v26, v27, |v30|
; %bb.14:                               ;   in Loop: Header=BB29_10 Depth=1
	s_or_b64 exec, exec, s[10:11]
	v_add_u32_e32 v26, s6, v14
	v_ashrrev_i32_e32 v27, 31, v26
	v_lshlrev_b64 v[26:27], 1, v[26:27]
	v_mov_b32_e32 v29, s31
	v_add_co_u32_e32 v26, vcc, s30, v26
	v_addc_co_u32_e32 v27, vcc, v29, v27, vcc
	flat_load_ushort v29, v[26:27]
	v_cmp_nlt_f32_e64 s[10:11], |v31|, s12
                                        ; implicit-def: $vgpr64
	s_and_saveexec_b64 s[34:35], s[10:11]
	s_xor_b64 s[10:11], exec, s[34:35]
	s_cbranch_execz .LBB29_16
; %bb.15:                               ;   in Loop: Header=BB29_10 Depth=1
	v_add_f32_e64 v64, |v31|, |v31|
	v_mul_f32_e32 v65, 0x3fb8aa3b, v64
	v_rndne_f32_e32 v66, v65
	v_sub_f32_e32 v67, v65, v66
	v_fma_f32 v65, v64, s13, -v65
	v_fmac_f32_e32 v65, 0x32a5705f, v64
	v_add_f32_e32 v65, v67, v65
	v_cvt_i32_f32_e32 v66, v66
	v_exp_f32_e32 v65, v65
	v_cmp_ngt_f32_e32 vcc, s24, v64
	v_ldexp_f32 v65, v65, v66
	v_cndmask_b32_e32 v65, 0, v65, vcc
	v_cmp_nlt_f32_e32 vcc, s25, v64
	v_cndmask_b32_e32 v64, v54, v65, vcc
	v_add_f32_e32 v64, 1.0, v64
	v_rcp_f32_e32 v64, v64
	v_fma_f32 v64, v64, -2.0, 1.0
.LBB29_16:                              ;   in Loop: Header=BB29_10 Depth=1
	s_andn2_saveexec_b64 s[10:11], s[10:11]
; %bb.17:                               ;   in Loop: Header=BB29_10 Depth=1
	v_mul_f32_e32 v64, v31, v31
	v_mov_b32_e32 v65, 0x3ca908c9
	v_fmac_f32_e32 v65, 0xbbbac73d, v64
	v_fma_f32 v65, v64, v65, v51
	v_fma_f32 v65, v64, v65, v52
	;; [unrolled: 1-line block ×3, first 2 shown]
	v_mul_f32_e64 v65, |v31|, v65
	v_fma_f32 v64, v64, v65, |v31|
; %bb.18:                               ;   in Loop: Header=BB29_10 Depth=1
	s_or_b64 exec, exec, s[10:11]
	flat_load_ushort v68, v[26:27] offset:64
	v_cmp_nlt_f32_e64 s[10:11], |v62|, s12
                                        ; implicit-def: $vgpr65
	s_and_saveexec_b64 s[34:35], s[10:11]
	s_xor_b64 s[10:11], exec, s[34:35]
	s_cbranch_execz .LBB29_20
; %bb.19:                               ;   in Loop: Header=BB29_10 Depth=1
	v_add_f32_e64 v65, |v62|, |v62|
	v_mul_f32_e32 v66, 0x3fb8aa3b, v65
	v_rndne_f32_e32 v67, v66
	v_sub_f32_e32 v69, v66, v67
	v_fma_f32 v66, v65, s13, -v66
	v_fmac_f32_e32 v66, 0x32a5705f, v65
	v_add_f32_e32 v66, v69, v66
	v_cvt_i32_f32_e32 v67, v67
	v_exp_f32_e32 v66, v66
	v_cmp_ngt_f32_e32 vcc, s24, v65
	v_ldexp_f32 v66, v66, v67
	v_cndmask_b32_e32 v66, 0, v66, vcc
	v_cmp_nlt_f32_e32 vcc, s25, v65
	v_cndmask_b32_e32 v65, v54, v66, vcc
	v_add_f32_e32 v65, 1.0, v65
	v_rcp_f32_e32 v65, v65
	v_fma_f32 v65, v65, -2.0, 1.0
.LBB29_20:                              ;   in Loop: Header=BB29_10 Depth=1
	s_andn2_saveexec_b64 s[10:11], s[10:11]
; %bb.21:                               ;   in Loop: Header=BB29_10 Depth=1
	v_mul_f32_e32 v65, v62, v62
	v_mov_b32_e32 v66, 0x3ca908c9
	v_fmac_f32_e32 v66, 0xbbbac73d, v65
	v_fma_f32 v66, v65, v66, v51
	v_fma_f32 v66, v65, v66, v52
	;; [unrolled: 1-line block ×3, first 2 shown]
	v_mul_f32_e64 v66, |v62|, v66
	v_fma_f32 v65, v65, v66, |v62|
; %bb.22:                               ;   in Loop: Header=BB29_10 Depth=1
	s_or_b64 exec, exec, s[10:11]
	flat_load_ushort v69, v[26:27] offset:128
	v_cmp_nlt_f32_e64 s[10:11], |v63|, s12
                                        ; implicit-def: $vgpr66
	s_and_saveexec_b64 s[34:35], s[10:11]
	s_xor_b64 s[10:11], exec, s[34:35]
	s_cbranch_execz .LBB29_24
; %bb.23:                               ;   in Loop: Header=BB29_10 Depth=1
	v_add_f32_e64 v66, |v63|, |v63|
	v_mul_f32_e32 v67, 0x3fb8aa3b, v66
	v_rndne_f32_e32 v70, v67
	v_sub_f32_e32 v71, v67, v70
	v_fma_f32 v67, v66, s13, -v67
	v_fmac_f32_e32 v67, 0x32a5705f, v66
	v_add_f32_e32 v67, v71, v67
	v_cvt_i32_f32_e32 v70, v70
	v_exp_f32_e32 v67, v67
	v_cmp_ngt_f32_e32 vcc, s24, v66
	v_ldexp_f32 v67, v67, v70
	v_cndmask_b32_e32 v67, 0, v67, vcc
	v_cmp_nlt_f32_e32 vcc, s25, v66
	v_cndmask_b32_e32 v66, v54, v67, vcc
	v_add_f32_e32 v66, 1.0, v66
	v_rcp_f32_e32 v66, v66
	v_fma_f32 v66, v66, -2.0, 1.0
.LBB29_24:                              ;   in Loop: Header=BB29_10 Depth=1
	s_andn2_saveexec_b64 s[10:11], s[10:11]
; %bb.25:                               ;   in Loop: Header=BB29_10 Depth=1
	v_mul_f32_e32 v66, v63, v63
	v_mov_b32_e32 v67, 0x3ca908c9
	v_fmac_f32_e32 v67, 0xbbbac73d, v66
	v_fma_f32 v67, v66, v67, v51
	v_fma_f32 v67, v66, v67, v52
	;; [unrolled: 1-line block ×3, first 2 shown]
	v_mul_f32_e64 v67, |v63|, v67
	v_fma_f32 v66, v66, v67, |v63|
; %bb.26:                               ;   in Loop: Header=BB29_10 Depth=1
	s_or_b64 exec, exec, s[10:11]
	flat_load_ushort v27, v[26:27] offset:192
	v_bfi_b32 v26, s26, v28, v30
	v_bfi_b32 v28, s26, v64, v31
	s_waitcnt vmcnt(0) lgkmcnt(0)
	v_fma_mix_f32 v30, v26, s0, v29 op_sel_hi:[0,0,1]
	v_fma_mix_f32 v31, v28, s0, v68 op_sel_hi:[0,0,1]
	v_add_f32_e32 v26, 0x40051340, v30
	v_add_f32_e32 v28, 0x40051340, v31
	v_max3_f32 v64, v10, v26, v28
	v_bfi_b32 v26, s26, v65, v62
	v_fma_mix_f32 v28, v26, s0, v69 op_sel_hi:[0,0,1]
	v_and_b32_e32 v26, 0x60, v15
	v_add_u32_e32 v62, 32, v26
	v_xor_b32_e32 v67, 16, v15
	v_cmp_lt_i32_e32 vcc, v67, v62
	v_cndmask_b32_e32 v26, v15, v67, vcc
	v_lshlrev_b32_e32 v70, 2, v26
	v_bfi_b32 v26, s26, v66, v63
	v_add_f32_e32 v65, 0x40051340, v28
	v_cmp_nlt_f32_e64 s[10:11], |v3|, s12
                                        ; implicit-def: $vgpr77
	v_fma_mix_f32 v26, v26, s0, v27 op_sel_hi:[0,0,1]
	v_add_f32_e32 v63, 0x40051340, v26
	v_max3_f32 v64, v64, v65, v63
	ds_bpermute_b32 v65, v70, v64
	v_xor_b32_e32 v63, 8, v15
	v_cmp_lt_i32_e32 vcc, v63, v62
	v_cndmask_b32_e32 v66, v15, v63, vcc
	v_lshlrev_b32_e32 v71, 2, v66
	s_waitcnt lgkmcnt(0)
	v_max_f32_e32 v65, v65, v65
	v_max_f32_e32 v65, v64, v65
	ds_bpermute_b32 v66, v71, v65
	v_xor_b32_e32 v64, 4, v15
	v_cmp_lt_i32_e32 vcc, v64, v62
	v_cndmask_b32_e32 v72, v15, v64, vcc
	v_lshlrev_b32_e32 v72, 2, v72
	s_waitcnt lgkmcnt(0)
	v_max_f32_e32 v66, v66, v66
	v_max_f32_e32 v66, v65, v66
	;; [unrolled: 8-line block ×4, first 2 shown]
	ds_bpermute_b32 v74, v76, v73
	s_and_saveexec_b64 s[34:35], s[10:11]
	s_xor_b64 s[10:11], exec, s[34:35]
	s_cbranch_execz .LBB29_28
; %bb.27:                               ;   in Loop: Header=BB29_10 Depth=1
	v_add_f32_e64 v77, |v3|, |v3|
	v_mul_f32_e32 v78, 0x3fb8aa3b, v77
	v_rndne_f32_e32 v79, v78
	v_sub_f32_e32 v80, v78, v79
	v_fma_f32 v78, v77, s13, -v78
	v_fmac_f32_e32 v78, 0x32a5705f, v77
	v_add_f32_e32 v78, v80, v78
	v_cvt_i32_f32_e32 v79, v79
	v_exp_f32_e32 v78, v78
	v_cmp_ngt_f32_e32 vcc, s24, v77
	v_ldexp_f32 v78, v78, v79
	v_cndmask_b32_e32 v78, 0, v78, vcc
	v_cmp_nlt_f32_e32 vcc, s25, v77
	v_cndmask_b32_e32 v77, v54, v78, vcc
	v_add_f32_e32 v77, 1.0, v77
	v_rcp_f32_e32 v77, v77
	v_fma_f32 v77, v77, -2.0, 1.0
.LBB29_28:                              ;   in Loop: Header=BB29_10 Depth=1
	s_andn2_saveexec_b64 s[10:11], s[10:11]
; %bb.29:                               ;   in Loop: Header=BB29_10 Depth=1
	v_mul_f32_e32 v77, v3, v3
	v_mov_b32_e32 v78, 0x3ca908c9
	v_fmac_f32_e32 v78, 0xbbbac73d, v77
	v_fma_f32 v78, v77, v78, v51
	v_fma_f32 v78, v77, v78, v52
	;; [unrolled: 1-line block ×3, first 2 shown]
	v_mul_f32_e64 v78, |v3|, v78
	v_fma_f32 v77, v77, v78, |v3|
; %bb.30:                               ;   in Loop: Header=BB29_10 Depth=1
	s_or_b64 exec, exec, s[10:11]
	v_cmp_nlt_f32_e64 s[10:11], |v32|, s12
                                        ; implicit-def: $vgpr78
	s_and_saveexec_b64 s[34:35], s[10:11]
	s_xor_b64 s[10:11], exec, s[34:35]
	s_cbranch_execz .LBB29_32
; %bb.31:                               ;   in Loop: Header=BB29_10 Depth=1
	v_add_f32_e64 v78, |v32|, |v32|
	v_mul_f32_e32 v79, 0x3fb8aa3b, v78
	v_rndne_f32_e32 v80, v79
	v_sub_f32_e32 v81, v79, v80
	v_fma_f32 v79, v78, s13, -v79
	v_fmac_f32_e32 v79, 0x32a5705f, v78
	v_add_f32_e32 v79, v81, v79
	v_cvt_i32_f32_e32 v80, v80
	v_exp_f32_e32 v79, v79
	v_cmp_ngt_f32_e32 vcc, s24, v78
	v_ldexp_f32 v79, v79, v80
	v_cndmask_b32_e32 v79, 0, v79, vcc
	v_cmp_nlt_f32_e32 vcc, s25, v78
	v_cndmask_b32_e32 v78, v54, v79, vcc
	v_add_f32_e32 v78, 1.0, v78
	v_rcp_f32_e32 v78, v78
	v_fma_f32 v78, v78, -2.0, 1.0
.LBB29_32:                              ;   in Loop: Header=BB29_10 Depth=1
	s_andn2_saveexec_b64 s[10:11], s[10:11]
; %bb.33:                               ;   in Loop: Header=BB29_10 Depth=1
	v_mul_f32_e32 v78, v32, v32
	v_mov_b32_e32 v79, 0x3ca908c9
	v_fmac_f32_e32 v79, 0xbbbac73d, v78
	v_fma_f32 v79, v78, v79, v51
	v_fma_f32 v79, v78, v79, v52
	;; [unrolled: 1-line block ×3, first 2 shown]
	v_mul_f32_e64 v79, |v32|, v79
	v_fma_f32 v78, v78, v79, |v32|
; %bb.34:                               ;   in Loop: Header=BB29_10 Depth=1
	s_or_b64 exec, exec, s[10:11]
	v_cmp_nlt_f32_e64 s[10:11], |v33|, s12
                                        ; implicit-def: $vgpr79
	s_and_saveexec_b64 s[34:35], s[10:11]
	s_xor_b64 s[10:11], exec, s[34:35]
	s_cbranch_execz .LBB29_36
; %bb.35:                               ;   in Loop: Header=BB29_10 Depth=1
	v_add_f32_e64 v79, |v33|, |v33|
	v_mul_f32_e32 v80, 0x3fb8aa3b, v79
	v_rndne_f32_e32 v81, v80
	v_sub_f32_e32 v82, v80, v81
	v_fma_f32 v80, v79, s13, -v80
	v_fmac_f32_e32 v80, 0x32a5705f, v79
	v_add_f32_e32 v80, v82, v80
	v_cvt_i32_f32_e32 v81, v81
	v_exp_f32_e32 v80, v80
	v_cmp_ngt_f32_e32 vcc, s24, v79
	v_ldexp_f32 v80, v80, v81
	v_cndmask_b32_e32 v80, 0, v80, vcc
	v_cmp_nlt_f32_e32 vcc, s25, v79
	v_cndmask_b32_e32 v79, v54, v80, vcc
	v_add_f32_e32 v79, 1.0, v79
	v_rcp_f32_e32 v79, v79
	v_fma_f32 v79, v79, -2.0, 1.0
.LBB29_36:                              ;   in Loop: Header=BB29_10 Depth=1
	s_andn2_saveexec_b64 s[10:11], s[10:11]
; %bb.37:                               ;   in Loop: Header=BB29_10 Depth=1
	v_mul_f32_e32 v79, v33, v33
	v_mov_b32_e32 v80, 0x3ca908c9
	v_fmac_f32_e32 v80, 0xbbbac73d, v79
	v_fma_f32 v80, v79, v80, v51
	v_fma_f32 v80, v79, v80, v52
	v_fma_f32 v80, v79, v80, v53
	v_mul_f32_e64 v80, |v33|, v80
	v_fma_f32 v79, v79, v80, |v33|
; %bb.38:                               ;   in Loop: Header=BB29_10 Depth=1
	s_or_b64 exec, exec, s[10:11]
	v_cmp_nlt_f32_e64 s[10:11], |v61|, s12
                                        ; implicit-def: $vgpr80
	s_and_saveexec_b64 s[34:35], s[10:11]
	s_xor_b64 s[10:11], exec, s[34:35]
	s_cbranch_execz .LBB29_40
; %bb.39:                               ;   in Loop: Header=BB29_10 Depth=1
	v_add_f32_e64 v80, |v61|, |v61|
	v_mul_f32_e32 v81, 0x3fb8aa3b, v80
	v_rndne_f32_e32 v82, v81
	v_sub_f32_e32 v83, v81, v82
	v_fma_f32 v81, v80, s13, -v81
	v_fmac_f32_e32 v81, 0x32a5705f, v80
	v_add_f32_e32 v81, v83, v81
	v_cvt_i32_f32_e32 v82, v82
	v_exp_f32_e32 v81, v81
	v_cmp_ngt_f32_e32 vcc, s24, v80
	v_ldexp_f32 v81, v81, v82
	v_cndmask_b32_e32 v81, 0, v81, vcc
	v_cmp_nlt_f32_e32 vcc, s25, v80
	v_cndmask_b32_e32 v80, v54, v81, vcc
	v_add_f32_e32 v80, 1.0, v80
	v_rcp_f32_e32 v80, v80
	v_fma_f32 v80, v80, -2.0, 1.0
.LBB29_40:                              ;   in Loop: Header=BB29_10 Depth=1
	s_andn2_saveexec_b64 s[10:11], s[10:11]
	s_cbranch_execz .LBB29_9
; %bb.41:                               ;   in Loop: Header=BB29_10 Depth=1
	v_mul_f32_e32 v80, v61, v61
	v_mov_b32_e32 v81, 0x3ca908c9
	v_fmac_f32_e32 v81, 0xbbbac73d, v80
	v_fma_f32 v81, v80, v81, v51
	v_fma_f32 v81, v80, v81, v52
	;; [unrolled: 1-line block ×3, first 2 shown]
	v_mul_f32_e64 v81, |v61|, v81
	v_fma_f32 v80, v80, v81, |v61|
	s_branch .LBB29_9
.LBB29_42:
	v_cmp_lt_i32_e32 vcc, v67, v62
	v_cndmask_b32_e32 v3, v15, v67, vcc
	v_lshlrev_b32_e32 v3, 2, v3
	ds_bpermute_b32 v16, v3, v12
	ds_bpermute_b32 v17, v3, v13
	v_cmp_lt_i32_e32 vcc, v63, v62
	v_cndmask_b32_e32 v3, v15, v63, vcc
	v_lshlrev_b32_e32 v3, 2, v3
	v_cmp_lt_i32_e32 vcc, v64, v62
	s_waitcnt lgkmcnt(0)
	v_pk_add_f32 v[12:13], v[12:13], v[16:17]
	ds_bpermute_b32 v16, v3, v12
	ds_bpermute_b32 v17, v3, v13
	v_cndmask_b32_e32 v3, v15, v64, vcc
	v_lshlrev_b32_e32 v3, 2, v3
	v_cmp_lt_i32_e32 vcc, v65, v62
	s_cmp_lg_u64 s[16:17], 0
	s_waitcnt lgkmcnt(0)
	v_pk_add_f32 v[12:13], v[12:13], v[16:17]
	ds_bpermute_b32 v16, v3, v12
	ds_bpermute_b32 v17, v3, v13
	v_cndmask_b32_e32 v3, v15, v65, vcc
	v_lshlrev_b32_e32 v3, 2, v3
	v_cmp_lt_i32_e32 vcc, v66, v62
	s_cselect_b64 s[0:1], -1, 0
	s_waitcnt lgkmcnt(0)
	v_pk_add_f32 v[12:13], v[12:13], v[16:17]
	ds_bpermute_b32 v16, v3, v12
	ds_bpermute_b32 v17, v3, v13
	v_cndmask_b32_e32 v3, v15, v66, vcc
	v_lshlrev_b32_e32 v3, 2, v3
	s_cmp_eq_u32 s7, 0
	s_cselect_b64 s[8:9], -1, 0
	s_waitcnt lgkmcnt(0)
	v_pk_add_f32 v[12:13], v[12:13], v[16:17]
	ds_bpermute_b32 v14, v3, v12
	ds_bpermute_b32 v15, v3, v13
	s_and_b64 s[0:1], s[8:9], s[0:1]
	s_and_b64 vcc, exec, s[0:1]
	s_waitcnt lgkmcnt(0)
	v_pk_add_f32 v[12:13], v[12:13], v[14:15]
	s_cbranch_vccz .LBB29_44
; %bb.43:
	v_add_u32_e32 v14, s29, v21
	v_ashrrev_i32_e32 v15, 31, v14
	v_lshlrev_b64 v[14:15], 2, v[14:15]
	v_mov_b32_e32 v3, s17
	v_add_co_u32_e32 v14, vcc, s16, v14
	v_addc_co_u32_e32 v15, vcc, v3, v15, vcc
	global_load_dwordx2 v[14:15], v[14:15], off
	v_max_f32_e32 v3, v11, v11
	v_max_f32_e32 v16, v10, v10
	s_mov_b32 s0, 0x3fb8aa3b
	s_mov_b32 s1, 0xc2ce8ed0
	;; [unrolled: 1-line block ×3, first 2 shown]
	v_mov_b32_e32 v18, 0x7f800000
	s_waitcnt vmcnt(0)
	v_max_f32_e32 v17, v15, v15
	v_max_f32_e32 v19, v14, v14
	;; [unrolled: 1-line block ×4, first 2 shown]
	v_pk_add_f32 v[10:11], v[10:11], v[16:17] neg_lo:[0,1] neg_hi:[0,1]
	v_mul_f32_e32 v3, 0x3fb8aa3b, v11
	v_pk_add_f32 v[14:15], v[14:15], v[16:17] neg_lo:[0,1] neg_hi:[0,1]
	v_mul_f32_e32 v19, 0x3fb8aa3b, v10
	v_fma_f32 v27, v11, s0, -v3
	v_rndne_f32_e32 v28, v3
	v_mul_f32_e32 v25, 0x3fb8aa3b, v15
	v_fma_f32 v29, v10, s0, -v19
	v_rndne_f32_e32 v30, v19
	v_fmac_f32_e32 v27, 0x32a5705f, v11
	v_sub_f32_e32 v3, v3, v28
	v_mul_f32_e32 v26, 0x3fb8aa3b, v14
	v_fma_f32 v31, v15, s0, -v25
	v_rndne_f32_e32 v32, v25
	v_fmac_f32_e32 v29, 0x32a5705f, v10
	v_sub_f32_e32 v19, v19, v30
	v_add_f32_e32 v3, v3, v27
	v_fma_f32 v33, v14, s0, -v26
	v_rndne_f32_e32 v34, v26
	v_cvt_i32_f32_e32 v28, v28
	v_fmac_f32_e32 v31, 0x32a5705f, v15
	v_sub_f32_e32 v25, v25, v32
	v_add_f32_e32 v19, v19, v29
	v_exp_f32_e32 v3, v3
	v_cvt_i32_f32_e32 v30, v30
	v_fmac_f32_e32 v33, 0x32a5705f, v14
	v_sub_f32_e32 v26, v26, v34
	v_add_f32_e32 v25, v25, v31
	v_exp_f32_e32 v19, v19
	v_cvt_i32_f32_e32 v32, v32
	v_add_f32_e32 v26, v26, v33
	v_exp_f32_e32 v25, v25
	v_cvt_i32_f32_e32 v34, v34
	v_exp_f32_e32 v26, v26
	v_ldexp_f32 v3, v3, v28
	v_cmp_ngt_f32_e32 vcc, s1, v11
	v_ldexp_f32 v19, v19, v30
	v_cndmask_b32_e32 v3, 0, v3, vcc
	v_cmp_ngt_f32_e32 vcc, s1, v10
	v_ldexp_f32 v25, v25, v32
	v_cndmask_b32_e32 v19, 0, v19, vcc
	;; [unrolled: 3-line block ×3, first 2 shown]
	v_cmp_ngt_f32_e32 vcc, s1, v14
	v_cndmask_b32_e32 v26, 0, v26, vcc
	v_cmp_nlt_f32_e32 vcc, s6, v11
	v_cndmask_b32_e32 v11, v18, v3, vcc
	v_cmp_nlt_f32_e32 vcc, s6, v10
	;; [unrolled: 2-line block ×4, first 2 shown]
	v_cndmask_b32_e32 v14, v18, v26, vcc
	v_cvt_f16_f32_e32 v3, v10
	v_pk_fma_f32 v[12:13], v[12:13], v[10:11], v[14:15]
	v_cvt_f16_f32_e32 v10, v11
	v_pk_mul_f16 v59, v3, v59 op_sel_hi:[0,1]
	v_pk_mul_f16 v22, v3, v22 op_sel_hi:[0,1]
	;; [unrolled: 1-line block ×16, first 2 shown]
	v_pk_mov_b32 v[10:11], v[16:17], v[16:17] op_sel:[0,1]
.LBB29_44:
	v_cmp_gt_i32_e32 vcc, s2, v9
	s_and_saveexec_b64 s[0:1], vcc
	s_cbranch_execz .LBB29_53
; %bb.45:
	s_load_dword s6, s[4:5], 0xd4
	v_mov_b32_e32 v14, 1.0
	s_waitcnt lgkmcnt(0)
	s_cmp_lg_u32 s6, 1
	s_cselect_b64 s[0:1], -1, 0
	s_cmp_eq_u32 s6, 1
	s_cselect_b64 s[4:5], -1, 0
	s_and_b64 vcc, exec, s[0:1]
	s_cbranch_vccnz .LBB29_47
; %bb.46:
	v_div_scale_f32 v3, s[8:9], v12, v12, 1.0
	v_rcp_f32_e32 v14, v3
	v_div_scale_f32 v15, vcc, 1.0, v12, 1.0
	v_fma_f32 v16, -v3, v14, 1.0
	v_fmac_f32_e32 v14, v16, v14
	v_mul_f32_e32 v16, v15, v14
	v_fma_f32 v17, -v3, v16, v15
	v_fmac_f32_e32 v16, v17, v14
	v_fma_f32 v3, -v3, v16, v15
	v_div_fmas_f32 v3, v3, v14, v16
	v_div_fixup_f32 v14, v3, v12, 1.0
.LBB29_47:
	s_mul_i32 s33, s33, s2
	v_add_u32_e32 v3, s33, v9
	v_mul_lo_u32 v3, v3, s3
	v_add3_u32 v3, s29, v21, v3
	v_mul_lo_u32 v3, s6, v3
	v_cmp_eq_u32_e32 vcc, 0, v8
	v_add_u32_e32 v8, s7, v3
	v_cvt_f32_f16_sdwa v19, v59 dst_sel:DWORD dst_unused:UNUSED_PAD src0_sel:WORD_1
	v_cvt_f32_f16_e32 v18, v59
	v_cvt_f32_f16_sdwa v29, v22 dst_sel:DWORD dst_unused:UNUSED_PAD src0_sel:WORD_1
	v_cvt_f32_f16_e32 v28, v22
	v_lshl_add_u32 v26, v8, 9, v23
	v_mov_b32_e32 v27, 0
	v_lshlrev_b64 v[16:17], 2, v[26:27]
	s_and_b64 s[0:1], vcc, s[0:1]
	v_mov_b32_e32 v3, s21
	v_add_co_u32_e32 v30, vcc, s20, v16
	v_addc_co_u32_e32 v31, vcc, v3, v17, vcc
	v_pk_mul_f32 v[16:17], v[14:15], v[18:19] op_sel_hi:[0,1]
	v_pk_mul_f32 v[18:19], v[14:15], v[28:29] op_sel_hi:[0,1]
	global_store_dwordx4 v[30:31], v[16:19], off
	v_cvt_f32_f16_sdwa v25, v24 dst_sel:DWORD dst_unused:UNUSED_PAD src0_sel:WORD_1
	v_cvt_f32_f16_sdwa v19, v60 dst_sel:DWORD dst_unused:UNUSED_PAD src0_sel:WORD_1
	v_cvt_f32_f16_e32 v18, v60
	v_cvt_f32_f16_e32 v24, v24
	v_add_u32_e32 v16, 0x80, v26
	v_mov_b32_e32 v17, v27
	v_lshlrev_b64 v[16:17], 2, v[16:17]
	v_add_co_u32_e32 v28, vcc, s20, v16
	v_addc_co_u32_e32 v29, vcc, v3, v17, vcc
	v_pk_mul_f32 v[16:17], v[14:15], v[18:19] op_sel_hi:[0,1]
	v_pk_mul_f32 v[18:19], v[14:15], v[24:25] op_sel_hi:[0,1]
	global_store_dwordx4 v[28:29], v[16:19], off
	v_cvt_f32_f16_sdwa v21, v20 dst_sel:DWORD dst_unused:UNUSED_PAD src0_sel:WORD_1
	v_cvt_f32_f16_sdwa v19, v58 dst_sel:DWORD dst_unused:UNUSED_PAD src0_sel:WORD_1
	v_cvt_f32_f16_e32 v18, v58
	v_cvt_f32_f16_e32 v20, v20
	v_add_u32_e32 v16, 0x100, v26
	v_mov_b32_e32 v17, v27
	v_lshlrev_b64 v[16:17], 2, v[16:17]
	v_add_co_u32_e32 v24, vcc, s20, v16
	v_addc_co_u32_e32 v25, vcc, v3, v17, vcc
	v_pk_mul_f32 v[16:17], v[14:15], v[18:19] op_sel_hi:[0,1]
	v_pk_mul_f32 v[18:19], v[14:15], v[20:21] op_sel_hi:[0,1]
	global_store_dwordx4 v[24:25], v[16:19], off
	v_cvt_f32_f16_sdwa v21, v6 dst_sel:DWORD dst_unused:UNUSED_PAD src0_sel:WORD_1
	v_cvt_f32_f16_sdwa v19, v57 dst_sel:DWORD dst_unused:UNUSED_PAD src0_sel:WORD_1
	v_cvt_f32_f16_e32 v18, v57
	v_cvt_f32_f16_e32 v20, v6
	v_add_u32_e32 v26, 0x180, v26
	v_lshlrev_b64 v[16:17], 2, v[26:27]
	v_add_co_u32_e32 v24, vcc, s20, v16
	v_addc_co_u32_e32 v25, vcc, v3, v17, vcc
	v_pk_mul_f32 v[16:17], v[14:15], v[18:19] op_sel_hi:[0,1]
	v_pk_mul_f32 v[18:19], v[14:15], v[20:21] op_sel_hi:[0,1]
	global_store_dwordx4 v[24:25], v[16:19], off
	s_and_saveexec_b64 s[2:3], s[0:1]
	s_cbranch_execz .LBB29_49
; %bb.48:
	v_ashrrev_i32_e32 v9, 31, v8
	v_lshlrev_b64 v[14:15], 3, v[8:9]
	v_mov_b32_e32 v3, s23
	v_add_co_u32_e32 v14, vcc, s22, v14
	v_addc_co_u32_e32 v15, vcc, v3, v15, vcc
	v_mov_b32_e32 v16, v10
	v_mov_b32_e32 v17, v12
	global_store_dwordx2 v[14:15], v[16:17], off
.LBB29_49:
	s_or_b64 exec, exec, s[2:3]
	s_andn2_b64 vcc, exec, s[4:5]
	v_mov_b32_e32 v10, 1.0
	s_cbranch_vccnz .LBB29_51
; %bb.50:
	v_div_scale_f32 v3, s[2:3], v13, v13, 1.0
	v_rcp_f32_e32 v6, v3
	v_div_scale_f32 v9, vcc, 1.0, v13, 1.0
	v_fma_f32 v10, -v3, v6, 1.0
	v_fmac_f32_e32 v6, v10, v6
	v_mul_f32_e32 v10, v9, v6
	v_fma_f32 v12, -v3, v10, v9
	v_fmac_f32_e32 v10, v12, v6
	v_fma_f32 v3, -v3, v10, v9
	v_div_fmas_f32 v3, v3, v6, v10
	v_div_fixup_f32 v10, v3, v13, 1.0
.LBB29_51:
	v_add_u32_e32 v6, s6, v8
	v_cvt_f32_f16_sdwa v17, v55 dst_sel:DWORD dst_unused:UNUSED_PAD src0_sel:WORD_1
	v_cvt_f32_f16_e32 v16, v55
	v_cvt_f32_f16_sdwa v19, v4 dst_sel:DWORD dst_unused:UNUSED_PAD src0_sel:WORD_1
	v_cvt_f32_f16_e32 v18, v4
	v_lshl_add_u32 v8, v6, 9, v23
	v_mov_b32_e32 v9, 0
	v_lshlrev_b64 v[14:15], 2, v[8:9]
	v_mov_b32_e32 v12, s21
	v_add_co_u32_e32 v20, vcc, s20, v14
	v_addc_co_u32_e32 v21, vcc, v12, v15, vcc
	v_pk_mul_f32 v[14:15], v[10:11], v[16:17] op_sel_hi:[0,1]
	v_pk_mul_f32 v[16:17], v[10:11], v[18:19] op_sel_hi:[0,1]
	global_store_dwordx4 v[20:21], v[14:17], off
	v_cvt_f32_f16_sdwa v3, v2 dst_sel:DWORD dst_unused:UNUSED_PAD src0_sel:WORD_1
	v_cvt_f32_f16_sdwa v17, v56 dst_sel:DWORD dst_unused:UNUSED_PAD src0_sel:WORD_1
	v_cvt_f32_f16_e32 v16, v56
	v_cvt_f32_f16_e32 v2, v2
	v_add_u32_e32 v14, 0x80, v8
	v_mov_b32_e32 v15, v9
	v_lshlrev_b64 v[14:15], 2, v[14:15]
	v_add_co_u32_e32 v18, vcc, s20, v14
	v_addc_co_u32_e32 v19, vcc, v12, v15, vcc
	v_pk_mul_f32 v[14:15], v[10:11], v[16:17] op_sel_hi:[0,1]
	v_pk_mul_f32 v[16:17], v[10:11], v[2:3] op_sel_hi:[0,1]
	global_store_dwordx4 v[18:19], v[14:17], off
	v_add_u32_e32 v2, 0x100, v8
	v_cvt_f32_f16_sdwa v15, v7 dst_sel:DWORD dst_unused:UNUSED_PAD src0_sel:WORD_1
	v_cvt_f32_f16_e32 v14, v7
	v_cvt_f32_f16_sdwa v17, v0 dst_sel:DWORD dst_unused:UNUSED_PAD src0_sel:WORD_1
	v_cvt_f32_f16_e32 v16, v0
	v_mov_b32_e32 v3, v9
	v_lshlrev_b64 v[2:3], 2, v[2:3]
	v_add_co_u32_e32 v2, vcc, s20, v2
	v_addc_co_u32_e32 v3, vcc, v12, v3, vcc
	v_pk_mul_f32 v[14:15], v[10:11], v[14:15] op_sel_hi:[0,1]
	v_pk_mul_f32 v[16:17], v[10:11], v[16:17] op_sel_hi:[0,1]
	v_add_u32_e32 v8, 0x180, v8
	global_store_dwordx4 v[2:3], v[14:17], off
	v_lshlrev_b64 v[2:3], 2, v[8:9]
	v_cvt_f32_f16_sdwa v9, v5 dst_sel:DWORD dst_unused:UNUSED_PAD src0_sel:WORD_1
	v_cvt_f32_f16_e32 v8, v5
	v_cvt_f32_f16_sdwa v5, v1 dst_sel:DWORD dst_unused:UNUSED_PAD src0_sel:WORD_1
	v_cvt_f32_f16_e32 v4, v1
	v_add_co_u32_e32 v14, vcc, s20, v2
	v_addc_co_u32_e32 v15, vcc, v12, v3, vcc
	v_pk_mul_f32 v[0:1], v[10:11], v[8:9] op_sel_hi:[0,1]
	v_pk_mul_f32 v[2:3], v[10:11], v[4:5] op_sel_hi:[0,1]
	global_store_dwordx4 v[14:15], v[0:3], off
	s_and_b64 exec, exec, s[0:1]
	s_cbranch_execz .LBB29_53
; %bb.52:
	v_ashrrev_i32_e32 v7, 31, v6
	v_lshlrev_b64 v[0:1], 3, v[6:7]
	v_mov_b32_e32 v2, s23
	v_add_co_u32_e32 v0, vcc, s22, v0
	v_addc_co_u32_e32 v1, vcc, v2, v1, vcc
	v_mov_b32_e32 v12, v11
	global_store_dwordx2 v[0:1], v[12:13], off
.LBB29_53:
	s_endpgm
	.section	.rodata,"a",@progbits
	.p2align	6, 0x0
	.amdhsa_kernel _ZL15flash_attn_tileILi512ELi512ELi8ELi4ELb1EEvPKcS1_S1_S1_S1_PKiPfP15HIP_vector_typeIfLj2EEffffjfiS5_IjLj3EEiiiiiiiiiiiliiliiiiil
		.amdhsa_group_segment_fixed_size 59392
		.amdhsa_private_segment_fixed_size 0
		.amdhsa_kernarg_size 464
		.amdhsa_user_sgpr_count 6
		.amdhsa_user_sgpr_private_segment_buffer 1
		.amdhsa_user_sgpr_dispatch_ptr 0
		.amdhsa_user_sgpr_queue_ptr 0
		.amdhsa_user_sgpr_kernarg_segment_ptr 1
		.amdhsa_user_sgpr_dispatch_id 0
		.amdhsa_user_sgpr_flat_scratch_init 0
		.amdhsa_user_sgpr_kernarg_preload_length 0
		.amdhsa_user_sgpr_kernarg_preload_offset 0
		.amdhsa_user_sgpr_private_segment_size 0
		.amdhsa_uses_dynamic_stack 0
		.amdhsa_system_sgpr_private_segment_wavefront_offset 0
		.amdhsa_system_sgpr_workgroup_id_x 1
		.amdhsa_system_sgpr_workgroup_id_y 1
		.amdhsa_system_sgpr_workgroup_id_z 1
		.amdhsa_system_sgpr_workgroup_info 0
		.amdhsa_system_vgpr_workitem_id 1
		.amdhsa_next_free_vgpr 120
		.amdhsa_next_free_sgpr 40
		.amdhsa_accum_offset 120
		.amdhsa_reserve_vcc 1
		.amdhsa_reserve_flat_scratch 0
		.amdhsa_float_round_mode_32 0
		.amdhsa_float_round_mode_16_64 0
		.amdhsa_float_denorm_mode_32 3
		.amdhsa_float_denorm_mode_16_64 3
		.amdhsa_dx10_clamp 1
		.amdhsa_ieee_mode 1
		.amdhsa_fp16_overflow 0
		.amdhsa_tg_split 0
		.amdhsa_exception_fp_ieee_invalid_op 0
		.amdhsa_exception_fp_denorm_src 0
		.amdhsa_exception_fp_ieee_div_zero 0
		.amdhsa_exception_fp_ieee_overflow 0
		.amdhsa_exception_fp_ieee_underflow 0
		.amdhsa_exception_fp_ieee_inexact 0
		.amdhsa_exception_int_div_zero 0
	.end_amdhsa_kernel
	.section	.text._ZL15flash_attn_tileILi512ELi512ELi8ELi4ELb1EEvPKcS1_S1_S1_S1_PKiPfP15HIP_vector_typeIfLj2EEffffjfiS5_IjLj3EEiiiiiiiiiiiliiliiiiil,"axG",@progbits,_ZL15flash_attn_tileILi512ELi512ELi8ELi4ELb1EEvPKcS1_S1_S1_S1_PKiPfP15HIP_vector_typeIfLj2EEffffjfiS5_IjLj3EEiiiiiiiiiiiliiliiiiil,comdat
.Lfunc_end29:
	.size	_ZL15flash_attn_tileILi512ELi512ELi8ELi4ELb1EEvPKcS1_S1_S1_S1_PKiPfP15HIP_vector_typeIfLj2EEffffjfiS5_IjLj3EEiiiiiiiiiiiliiliiiiil, .Lfunc_end29-_ZL15flash_attn_tileILi512ELi512ELi8ELi4ELb1EEvPKcS1_S1_S1_S1_PKiPfP15HIP_vector_typeIfLj2EEffffjfiS5_IjLj3EEiiiiiiiiiiiliiliiiiil
                                        ; -- End function
	.section	.AMDGPU.csdata,"",@progbits
; Kernel info:
; codeLenInByte = 47684
; NumSgprs: 44
; NumVgprs: 120
; NumAgprs: 0
; TotalNumVgprs: 120
; ScratchSize: 0
; MemoryBound: 0
; FloatMode: 240
; IeeeMode: 1
; LDSByteSize: 59392 bytes/workgroup (compile time only)
; SGPRBlocks: 5
; VGPRBlocks: 14
; NumSGPRsForWavesPerEU: 44
; NumVGPRsForWavesPerEU: 120
; AccumOffset: 120
; Occupancy: 2
; WaveLimiterHint : 1
; COMPUTE_PGM_RSRC2:SCRATCH_EN: 0
; COMPUTE_PGM_RSRC2:USER_SGPR: 6
; COMPUTE_PGM_RSRC2:TRAP_HANDLER: 0
; COMPUTE_PGM_RSRC2:TGID_X_EN: 1
; COMPUTE_PGM_RSRC2:TGID_Y_EN: 1
; COMPUTE_PGM_RSRC2:TGID_Z_EN: 1
; COMPUTE_PGM_RSRC2:TIDIG_COMP_CNT: 1
; COMPUTE_PGM_RSRC3_GFX90A:ACCUM_OFFSET: 29
; COMPUTE_PGM_RSRC3_GFX90A:TG_SPLIT: 0
	.section	.text._ZL15flash_attn_tileILi512ELi512ELi4ELi4ELb1EEvPKcS1_S1_S1_S1_PKiPfP15HIP_vector_typeIfLj2EEffffjfiS5_IjLj3EEiiiiiiiiiiiliiliiiiil,"axG",@progbits,_ZL15flash_attn_tileILi512ELi512ELi4ELi4ELb1EEvPKcS1_S1_S1_S1_PKiPfP15HIP_vector_typeIfLj2EEffffjfiS5_IjLj3EEiiiiiiiiiiiliiliiiiil,comdat
	.globl	_ZL15flash_attn_tileILi512ELi512ELi4ELi4ELb1EEvPKcS1_S1_S1_S1_PKiPfP15HIP_vector_typeIfLj2EEffffjfiS5_IjLj3EEiiiiiiiiiiiliiliiiiil ; -- Begin function _ZL15flash_attn_tileILi512ELi512ELi4ELi4ELb1EEvPKcS1_S1_S1_S1_PKiPfP15HIP_vector_typeIfLj2EEffffjfiS5_IjLj3EEiiiiiiiiiiiliiliiiiil
	.p2align	8
	.type	_ZL15flash_attn_tileILi512ELi512ELi4ELi4ELb1EEvPKcS1_S1_S1_S1_PKiPfP15HIP_vector_typeIfLj2EEffffjfiS5_IjLj3EEiiiiiiiiiiiliiliiiiil,@function
_ZL15flash_attn_tileILi512ELi512ELi4ELi4ELb1EEvPKcS1_S1_S1_S1_PKiPfP15HIP_vector_typeIfLj2EEffffjfiS5_IjLj3EEiiiiiiiiiiiliiliiiiil: ; @_ZL15flash_attn_tileILi512ELi512ELi4ELi4ELb1EEvPKcS1_S1_S1_S1_PKiPfP15HIP_vector_typeIfLj2EEffffjfiS5_IjLj3EEiiiiiiiiiiiliiliiiiil
; %bb.0:
	s_load_dwordx4 s[0:3], s[4:5], 0x5c
	s_load_dwordx2 s[28:29], s[4:5], 0x80
	s_load_dwordx2 s[34:35], s[4:5], 0xb8
	s_mov_b64 s[30:31], 0
	s_waitcnt lgkmcnt(0)
	s_ashr_i32 s9, s3, 31
	s_lshr_b32 s9, s9, 30
	s_add_i32 s9, s3, s9
	s_ashr_i32 s9, s9, 2
	v_cvt_f32_u32_e32 v1, s9
	s_sub_i32 s10, 0, s9
	v_rcp_iflag_f32_e32 v1, v1
	v_mul_f32_e32 v1, 0x4f7ffffe, v1
	v_cvt_u32_f32_e32 v1, v1
	v_readfirstlane_b32 s11, v1
	s_mul_i32 s10, s10, s11
	s_mul_hi_u32 s10, s11, s10
	s_add_i32 s11, s11, s10
	s_mul_hi_u32 s10, s8, s11
	s_mul_i32 s11, s10, s9
	s_sub_i32 s11, s8, s11
	s_add_i32 s12, s10, 1
	s_sub_i32 s13, s11, s9
	s_cmp_ge_u32 s11, s9
	s_cselect_b32 s10, s12, s10
	s_cselect_b32 s11, s13, s11
	s_add_i32 s12, s10, 1
	s_cmp_ge_u32 s11, s9
	s_cselect_b32 s33, s12, s10
	s_abs_i32 s9, s29
	v_cvt_f32_u32_e32 v1, s9
	s_lshl_b32 s8, s8, 2
	s_mul_i32 s12, s33, s3
	s_xor_b32 s10, s3, s29
	v_rcp_iflag_f32_e32 v1, v1
	s_sub_i32 s13, 0, s9
	s_sub_i32 s29, s8, s12
	s_abs_i32 s11, s3
	v_mul_f32_e32 v1, 0x4f7ffffe, v1
	v_cvt_u32_f32_e32 v1, v1
	s_ashr_i32 s10, s10, 31
	v_readfirstlane_b32 s8, v1
	s_mul_i32 s13, s13, s8
	s_mul_hi_u32 s12, s8, s13
	s_add_i32 s8, s8, s12
	s_mul_hi_u32 s8, s11, s8
	s_mul_i32 s12, s8, s9
	s_sub_i32 s11, s11, s12
	s_add_i32 s13, s8, 1
	s_sub_i32 s12, s11, s9
	s_cmp_ge_u32 s11, s9
	s_cselect_b32 s8, s13, s8
	s_cselect_b32 s11, s12, s11
	s_add_i32 s12, s8, 1
	s_cmp_ge_u32 s11, s9
	s_cselect_b32 s8, s12, s8
	s_xor_b32 s8, s8, s10
	s_sub_i32 s37, s8, s10
	s_abs_i32 s36, s37
	v_cvt_f32_u32_e32 v1, s36
	s_load_dwordx16 s[8:23], s[4:5], 0x0
	v_rcp_iflag_f32_e32 v1, v1
	s_waitcnt lgkmcnt(0)
	s_cmp_eq_u64 s[14:15], 0
	v_mul_f32_e32 v1, 0x4f7ffffe, v1
	v_cvt_u32_f32_e32 v1, v1
	v_readfirstlane_b32 s38, v1
	s_cbranch_scc1 .LBB30_2
; %bb.1:
	s_abs_i32 s26, s34
	v_cvt_f32_u32_e32 v1, s26
	s_sub_i32 s31, 0, s26
	s_abs_i32 s30, s33
	s_ashr_i32 s27, s33, 31
	v_rcp_iflag_f32_e32 v1, v1
	s_load_dwordx2 s[24:25], s[4:5], 0xc8
	v_mul_f32_e32 v1, 0x4f7ffffe, v1
	v_cvt_u32_f32_e32 v1, v1
	v_readfirstlane_b32 s34, v1
	s_mul_i32 s31, s31, s34
	s_mul_hi_u32 s31, s34, s31
	s_add_i32 s34, s34, s31
	s_mul_hi_u32 s31, s30, s34
	s_mul_i32 s31, s31, s26
	s_sub_i32 s30, s30, s31
	s_sub_i32 s31, s30, s26
	s_cmp_ge_u32 s30, s26
	s_cselect_b32 s30, s31, s30
	s_sub_i32 s31, s30, s26
	s_cmp_ge_u32 s30, s26
	s_cselect_b32 s26, s31, s30
	s_xor_b32 s26, s26, s27
	s_sub_i32 s26, s26, s27
	s_ashr_i32 s27, s26, 31
	s_waitcnt lgkmcnt(0)
	s_mul_i32 s25, s26, s25
	s_mul_hi_u32 s30, s26, s24
	s_add_i32 s25, s30, s25
	s_mul_i32 s27, s27, s24
	s_add_i32 s25, s25, s27
	s_mul_i32 s26, s26, s24
	s_add_u32 s30, s14, s26
	s_addc_u32 s31, s15, s25
.LBB30_2:
	s_load_dwordx4 s[24:27], s[4:5], 0x70
	v_bfe_u32 v12, v0, 10, 10
	v_lshrrev_b32_e32 v1, 1, v12
	v_lshl_add_u32 v5, s6, 2, v1
	v_mul_hi_u32 v1, s0, v5
	s_waitcnt lgkmcnt(0)
	s_mul_i32 s14, s33, s26
	s_ashr_i32 s26, s14, 31
	s_mul_i32 s15, s29, s25
	s_add_u32 s8, s8, s14
	v_add_u32_e32 v1, v5, v1
	s_addc_u32 s9, s9, s26
	s_ashr_i32 s14, s15, 31
	v_lshrrev_b32_e32 v1, s1, v1
	s_add_u32 s8, s8, s15
	v_mul_lo_u32 v1, v1, s2
	s_addc_u32 s9, s9, s14
	v_sub_u32_e32 v10, v5, v1
	s_ashr_i32 s15, s24, 31
	v_mov_b32_e32 v1, s24
	v_alignbit_b32 v1, s15, v1, 2
	v_mad_u64_u32 v[2:3], s[0:1], v1, v10, 0
	v_mov_b32_e32 v4, v3
	s_lshr_b32 s0, s15, 2
	v_mad_u64_u32 v[6:7], s[0:1], s0, v10, v[4:5]
	v_mov_b32_e32 v3, v6
	v_and_b32_e32 v4, 0x3ff, v0
	v_lshlrev_b64 v[0:1], 2, v[2:3]
	v_mov_b32_e32 v2, s9
	v_add_co_u32_e32 v0, vcc, s8, v0
	v_addc_co_u32_e32 v1, vcc, v2, v1, vcc
	v_lshlrev_b32_e32 v2, 4, v4
	v_lshlrev_b32_e32 v11, 1, v12
	s_ashr_i32 s14, s25, 31
	v_add_co_u32_e32 v13, vcc, v0, v2
	v_mov_b32_e32 v0, s25
	v_and_b32_e32 v17, 2, v11
	s_lshr_b32 s8, s14, 2
	v_alignbit_b32 v16, s14, v0, 2
	v_addc_co_u32_e32 v28, vcc, 0, v1, vcc
	v_mul_lo_u32 v2, s8, v17
	v_mad_u64_u32 v[0:1], s[0:1], v16, v17, 0
	v_or_b32_e32 v1, v1, v2
	v_lshlrev_b64 v[0:1], 2, v[0:1]
	v_add_co_u32_e32 v14, vcc, v13, v0
	v_addc_co_u32_e32 v15, vcc, v28, v1, vcc
	global_load_dwordx4 v[0:3], v[14:15], off
	global_load_dwordx4 v[6:9], v[14:15], off offset:512
	global_load_dwordx4 v[18:21], v[14:15], off offset:1024
	;; [unrolled: 1-line block ×3, first 2 shown]
	v_or_b32_e32 v11, 1, v11
	v_and_b32_e32 v26, 3, v11
	v_mad_u64_u32 v[14:15], s[0:1], v16, v26, 0
	v_mov_b32_e32 v16, v15
	v_mad_u64_u32 v[26:27], s[0:1], s8, v26, v[16:17]
	v_mov_b32_e32 v15, v26
	v_lshlrev_b64 v[14:15], 2, v[14:15]
	v_add_co_u32_e32 v14, vcc, v13, v14
	v_addc_co_u32_e32 v15, vcc, v28, v15, vcc
	global_load_dwordx4 v[26:29], v[14:15], off
	global_load_dwordx4 v[30:33], v[14:15], off offset:512
	global_load_dwordx4 v[34:37], v[14:15], off offset:1024
	;; [unrolled: 1-line block ×3, first 2 shown]
	s_load_dword s0, s[4:5], 0x40
	s_mov_b32 s1, 0
	v_lshlrev_b32_e32 v14, 3, v4
	v_lshl_or_b32 v16, v12, 11, v14
	v_lshlrev_b32_e32 v13, 1, v4
	s_cmp_eq_u64 s[18:19], 0
	s_waitcnt vmcnt(7) lgkmcnt(0)
	v_pk_mul_f32 v[0:1], v[0:1], s[0:1] op_sel_hi:[1,0]
	v_pk_mul_f32 v[2:3], v[2:3], s[0:1] op_sel_hi:[1,0]
	s_waitcnt vmcnt(6)
	v_pk_mul_f32 v[6:7], v[6:7], s[0:1] op_sel_hi:[1,0]
	v_pk_mul_f32 v[8:9], v[8:9], s[0:1] op_sel_hi:[1,0]
	s_waitcnt vmcnt(5)
	;; [unrolled: 3-line block ×3, first 2 shown]
	v_pk_mul_f32 v[20:21], v[22:23], s[0:1] op_sel_hi:[1,0]
	v_pk_mul_f32 v[22:23], v[24:25], s[0:1] op_sel_hi:[1,0]
	v_cvt_f16_f32_e32 v24, v1
	v_cvt_f16_f32_e32 v0, v0
	;; [unrolled: 1-line block ×8, first 2 shown]
	v_pack_b32_f16 v1, v2, v1
	v_pack_b32_f16 v0, v0, v24
	;; [unrolled: 1-line block ×4, first 2 shown]
	v_cvt_f16_f32_e32 v9, v15
	v_cvt_f16_f32_e32 v14, v14
	;; [unrolled: 1-line block ×6, first 2 shown]
	ds_write2_b64 v16, v[0:1], v[2:3] offset1:32
	v_cvt_f16_f32_e32 v2, v22
	v_cvt_f16_f32_e32 v6, v20
	v_pack_b32_f16 v1, v18, v15
	v_pack_b32_f16 v0, v14, v9
	;; [unrolled: 1-line block ×4, first 2 shown]
	ds_write2_b64 v16, v[0:1], v[2:3] offset0:64 offset1:96
	s_waitcnt vmcnt(3)
	v_pk_mul_f32 v[0:1], v[26:27], s[0:1] op_sel_hi:[1,0]
	v_lshlrev_b32_e32 v2, 8, v11
	v_cvt_f16_f32_e32 v6, v1
	v_cvt_f16_f32_e32 v7, v0
	v_pk_mul_f32 v[0:1], v[28:29], s[0:1] op_sel_hi:[1,0]
	v_cvt_f16_f32_e32 v8, v1
	v_cvt_f16_f32_e32 v9, v0
	v_add_lshl_u32 v11, v2, v13, 2
	s_waitcnt vmcnt(2)
	v_pk_mul_f32 v[0:1], v[30:31], s[0:1] op_sel_hi:[1,0]
	v_pk_mul_f32 v[2:3], v[32:33], s[0:1] op_sel_hi:[1,0]
	v_cvt_f16_f32_e32 v13, v1
	v_cvt_f16_f32_e32 v3, v3
	;; [unrolled: 1-line block ×4, first 2 shown]
	v_pack_b32_f16 v1, v9, v8
	v_pack_b32_f16 v0, v7, v6
	v_pack_b32_f16 v3, v2, v3
	v_pack_b32_f16 v2, v14, v13
	ds_write2_b64 v11, v[0:1], v[2:3] offset1:32
	s_waitcnt vmcnt(1)
	v_pk_mul_f32 v[0:1], v[34:35], s[0:1] op_sel_hi:[1,0]
	v_cvt_f16_f32_e32 v6, v1
	v_cvt_f16_f32_e32 v7, v0
	v_pk_mul_f32 v[0:1], v[36:37], s[0:1] op_sel_hi:[1,0]
	v_cvt_f16_f32_e32 v8, v1
	v_cvt_f16_f32_e32 v9, v0
	s_waitcnt vmcnt(0)
	v_pk_mul_f32 v[0:1], v[38:39], s[0:1] op_sel_hi:[1,0]
	v_pk_mul_f32 v[2:3], v[40:41], s[0:1] op_sel_hi:[1,0]
	v_cvt_f16_f32_e32 v13, v1
	v_cvt_f16_f32_e32 v3, v3
	;; [unrolled: 1-line block ×4, first 2 shown]
	v_pack_b32_f16 v1, v9, v8
	v_pack_b32_f16 v0, v7, v6
	;; [unrolled: 1-line block ×4, first 2 shown]
	ds_write2_b64 v11, v[0:1], v[2:3] offset0:64 offset1:96
	s_waitcnt lgkmcnt(0)
	s_barrier
	s_cbranch_scc1 .LBB30_4
; %bb.3:
	s_load_dword s0, s[4:5], 0xd0
	s_waitcnt lgkmcnt(0)
	s_mul_i32 s0, s0, s33
	s_add_i32 s0, s0, s6
	s_lshl_b64 s[0:1], s[0:1], 2
	s_add_u32 s0, s18, s0
	s_addc_u32 s1, s19, s1
	s_load_dword s28, s[0:1], 0x0
.LBB30_4:
	s_lshl_b32 s6, s7, 6
	v_lshlrev_b32_e32 v19, 2, v4
	s_waitcnt lgkmcnt(0)
	s_cmp_lt_i32 s6, s28
	v_mbcnt_lo_u32_b32 v26, -1, 0
	s_cbranch_scc1 .LBB30_6
; %bb.5:
	v_mbcnt_hi_u32_b32 v11, -1, v26
	v_and_b32_e32 v0, 0x60, v11
	s_mov_b32 s0, 0xfeffffff
	s_mov_b32 s14, 0
	v_add_u32_e32 v28, 32, v0
	v_xor_b32_e32 v54, 16, v11
	v_xor_b32_e32 v29, 8, v11
	;; [unrolled: 1-line block ×5, first 2 shown]
	s_mov_b32 s1, s0
	s_mov_b64 s[8:9], 0
	s_branch .LBB30_7
.LBB30_6:
	s_mov_b64 s[8:9], -1
                                        ; implicit-def: $sgpr14
                                        ; implicit-def: $sgpr0_sgpr1
                                        ; implicit-def: $vgpr11
                                        ; implicit-def: $vgpr28
                                        ; implicit-def: $vgpr54
                                        ; implicit-def: $vgpr29
                                        ; implicit-def: $vgpr51
                                        ; implicit-def: $vgpr52
                                        ; implicit-def: $vgpr53
.LBB30_7:
	s_andn2_b64 vcc, exec, s[8:9]
	v_mov_b32_e32 v9, s14
	v_mov_b32_e32 v48, s14
	v_pk_mov_b32 v[6:7], s[0:1], s[0:1] op_sel:[0,1]
	v_mov_b32_e32 v47, s14
	v_mov_b32_e32 v8, s14
	;; [unrolled: 1-line block ×16, first 2 shown]
	s_cbranch_vccnz .LBB30_26
; %bb.8:
	s_sub_i32 s0, 0, s36
	s_mul_i32 s0, s0, s38
	s_mul_hi_u32 s0, s38, s0
	s_add_i32 s38, s38, s0
	s_load_dwordx4 s[24:27], s[4:5], 0x98
	s_load_dword s0, s[4:5], 0x54
	s_load_dwordx2 s[8:9], s[4:5], 0x8c
	s_abs_i32 s1, s29
	s_mul_hi_u32 s18, s1, s38
	s_waitcnt lgkmcnt(0)
	s_ashr_i32 s14, s26, 2
	s_ashr_i32 s26, s35, 1
	;; [unrolled: 1-line block ×4, first 2 shown]
	s_mul_i32 s25, s33, s25
	s_mul_hi_u32 s35, s33, s24
	s_add_i32 s25, s35, s25
	s_mul_i32 s35, s8, s24
	s_ashr_i32 s19, s29, 31
	s_ashr_i32 s34, s37, 31
	s_add_i32 s25, s25, s35
	s_mul_i32 s24, s33, s24
	s_add_u32 s10, s10, s24
	s_mul_i32 s24, s18, s36
	s_addc_u32 s11, s11, s25
	s_sub_i32 s1, s1, s24
	s_xor_b32 s19, s19, s34
	s_add_i32 s24, s18, 1
	s_sub_i32 s25, s1, s36
	s_cmp_ge_u32 s1, s36
	s_cselect_b32 s18, s24, s18
	s_cselect_b32 s1, s25, s1
	s_add_i32 s24, s18, 1
	s_cmp_ge_u32 s1, s36
	s_load_dwordx2 s[38:39], s[4:5], 0xa8
	s_cselect_b32 s1, s24, s18
	s_xor_b32 s1, s1, s19
	s_sub_i32 s1, s1, s19
	s_mul_i32 s9, s1, s9
	s_ashr_i32 s19, s9, 31
	s_add_u32 s18, s10, s9
	s_waitcnt lgkmcnt(0)
	s_mul_i32 s9, s33, s39
	s_mul_hi_u32 s10, s33, s38
	s_addc_u32 s19, s11, s19
	s_add_i32 s9, s10, s9
	s_mul_i32 s8, s8, s38
	s_add_i32 s9, s9, s8
	s_mul_i32 s8, s33, s38
	s_add_u32 s8, s12, s8
	s_mul_i32 s1, s1, s27
	v_lshrrev_b32_e32 v0, 3, v4
	s_addc_u32 s9, s13, s9
	s_ashr_i32 s10, s1, 31
	v_lshl_add_u32 v2, v12, 2, v0
	v_and_b32_e32 v0, 28, v19
	s_add_u32 s1, s8, s1
	v_lshlrev_b32_e32 v3, 2, v0
	s_movk_i32 s8, 0x90
	v_mad_u32_u24 v6, v2, s8, v3
	v_add_u32_e32 v21, 0x4000, v6
	v_add_u32_e32 v23, 0x5200, v6
	v_mov_b32_e32 v6, 0x6400
	v_lshl_add_u32 v31, v12, 8, v6
	v_mul_lo_u32 v6, s14, v12
	s_addc_u32 s10, s9, s10
	v_mad_u64_u32 v[10:11], s[8:9], v10, s26, v[4:5]
	v_ashrrev_i32_e32 v7, 31, v6
	v_lshlrev_b32_e32 v11, 2, v19
	v_lshlrev_b64 v[6:7], 2, v[6:7]
	v_mul_lo_u32 v2, s15, v2
	v_lshlrev_b32_e32 v30, 11, v12
	v_lshl_add_u32 v13, v12, 10, v11
	v_mov_b32_e32 v12, s10
	v_add_co_u32_e32 v6, vcc, s1, v6
	v_lshl_add_u32 v8, s15, 5, v2
	v_addc_co_u32_e32 v7, vcc, v12, v7, vcc
	v_mov_b32_e32 v1, 0
	v_ashrrev_i32_e32 v3, 31, v2
	v_ashrrev_i32_e32 v9, 31, v8
	v_mov_b32_e32 v12, 0x4000
	s_add_u32 s8, s4, 0xd0
	v_add_co_u32_e32 v35, vcc, v6, v11
	v_mov_b32_e32 v6, 0xfeffffff
	v_mul_u32_u24_e32 v25, 0x90, v4
	v_add_u32_e32 v32, 0x4000, v13
	v_add_u32_e32 v33, 0x4200, v13
	v_lshl_or_b32 v34, v4, 3, v12
	s_addc_u32 s9, s5, 0
	s_mov_b32 s1, s0
	v_addc_co_u32_e32 v36, vcc, 0, v7, vcc
	v_lshlrev_b64 v[12:13], 2, v[2:3]
	v_lshlrev_b32_e32 v37, 2, v0
	v_lshlrev_b64 v[14:15], 2, v[8:9]
	s_mov_b32 s12, 0x3f200000
	s_mov_b32 s13, 0x3fb8aa3b
	s_mov_b32 s24, 0xc2ce8ed0
	s_mov_b32 s25, 0x42b17218
	v_mov_b32_e32 v38, 0xbd5c1c4e
	v_mov_b32_e32 v39, 0x3e088382
	;; [unrolled: 1-line block ×3, first 2 shown]
	s_brev_b32 s26, -2
	v_mbcnt_hi_u32_b32 v11, -1, v26
	v_mov_b32_e32 v41, 0x7f800000
	v_mov_b32_e32 v47, 0
	v_mov_b32_e32 v0, 0
	v_mov_b32_e32 v3, 0
	v_mov_b32_e32 v2, 0
	v_mov_b32_e32 v42, 0
	v_mov_b32_e32 v16, 0
	v_mov_b32_e32 v43, 0
	v_mov_b32_e32 v18, 0
	v_mov_b32_e32 v44, 0
	v_mov_b32_e32 v20, 0
	v_mov_b32_e32 v45, 0
	v_mov_b32_e32 v24, 0
	v_mov_b32_e32 v46, 0
	v_mov_b32_e32 v22, 0
	v_mov_b32_e32 v48, 0
	v_mov_b32_e32 v7, v6
	v_mov_b32_e32 v8, 0
	v_mov_b32_e32 v9, v1
	s_branch .LBB30_10
.LBB30_9:                               ;   in Loop: Header=BB30_10 Depth=1
	s_or_b64 exec, exec, s[10:11]
	v_cvt_f32_f16_e32 v66, v55
	v_cvt_f32_f16_e32 v67, v59
	v_bfi_b32 v65, s26, v65, v50
	v_bfi_b32 v64, s26, v64, v49
	s_mul_hi_i32 s11, s6, s14
	v_pk_fma_f32 v[64:65], v[64:65], s[0:1], v[66:67]
	v_add_f32_e32 v49, 0x40051340, v64
	v_add_f32_e32 v50, 0x40051340, v65
	v_max3_f32 v49, v7, v49, v50
	ds_bpermute_b32 v50, v56, v49
	v_mov_b32_e32 v66, v6
	v_mov_b32_e32 v67, v7
	s_mul_i32 s10, s6, s14
	s_lshl_b64 s[10:11], s[10:11], 2
	s_waitcnt lgkmcnt(0)
	v_max_f32_e32 v50, v50, v50
	v_max_f32_e32 v49, v49, v50
	ds_bpermute_b32 v50, v57, v49
	s_waitcnt lgkmcnt(0)
	s_barrier
	v_max_f32_e32 v50, v50, v50
	v_max_f32_e32 v49, v49, v50
	ds_bpermute_b32 v50, v58, v49
	s_waitcnt lgkmcnt(0)
	v_max_f32_e32 v50, v50, v50
	v_max_f32_e32 v49, v49, v50
	ds_bpermute_b32 v50, v61, v49
	s_waitcnt lgkmcnt(0)
	v_max_f32_e32 v6, v50, v50
	v_max_f32_e32 v7, v49, v6
	ds_bpermute_b32 v49, v63, v7
	v_max_f32_e32 v6, v62, v62
	v_max_f32_e32 v50, v60, v60
	;; [unrolled: 1-line block ×3, first 2 shown]
	s_waitcnt lgkmcnt(0)
	v_max_f32_e32 v49, v49, v49
	v_max_f32_e32 v7, v7, v49
	v_pk_add_f32 v[26:27], v[26:27], v[6:7] op_sel_hi:[1,0] neg_lo:[0,1] neg_hi:[0,1]
	v_mul_f32_e32 v49, 0x3fb8aa3b, v27
	v_fma_f32 v55, v27, s13, -v49
	v_rndne_f32_e32 v56, v49
	v_mul_f32_e32 v50, 0x3fb8aa3b, v26
	v_fmac_f32_e32 v55, 0x32a5705f, v27
	v_sub_f32_e32 v49, v49, v56
	v_fma_f32 v57, v26, s13, -v50
	v_rndne_f32_e32 v58, v50
	v_add_f32_e32 v49, v49, v55
	v_cvt_i32_f32_e32 v56, v56
	v_fmac_f32_e32 v57, 0x32a5705f, v26
	v_sub_f32_e32 v50, v50, v58
	v_exp_f32_e32 v49, v49
	v_add_f32_e32 v50, v50, v57
	v_cvt_i32_f32_e32 v58, v58
	v_exp_f32_e32 v50, v50
	v_ldexp_f32 v49, v49, v56
	v_cmp_ngt_f32_e32 vcc, s24, v27
	v_cndmask_b32_e32 v49, 0, v49, vcc
	v_cmp_nlt_f32_e32 vcc, s25, v27
	v_ldexp_f32 v50, v50, v58
	v_cndmask_b32_e32 v68, v41, v49, vcc
	v_cmp_ngt_f32_e32 vcc, s24, v26
	v_cndmask_b32_e32 v27, 0, v50, vcc
	v_cmp_nlt_f32_e32 vcc, s25, v26
	v_cndmask_b32_e32 v26, v41, v27, vcc
	v_mov_b32_e32 v27, s11
	v_add_co_u32_e32 v70, vcc, s10, v35
	v_addc_co_u32_e32 v71, vcc, v36, v27, vcc
	global_load_dwordx4 v[56:59], v[70:71], off
	global_load_dwordx4 v[60:63], v[70:71], off offset:512
	v_mov_b32_e32 v50, v7
	v_pk_add_f32 v[64:65], v[64:65], v[50:51] op_sel_hi:[1,0] neg_lo:[0,1] neg_hi:[0,1]
	v_mul_f32_e32 v27, 0x3fb8aa3b, v65
	v_fma_f32 v49, v65, s13, -v27
	v_rndne_f32_e32 v50, v27
	v_fmac_f32_e32 v49, 0x32a5705f, v65
	v_sub_f32_e32 v27, v27, v50
	v_add_f32_e32 v27, v27, v49
	v_exp_f32_e32 v27, v27
	v_cvt_i32_f32_e32 v49, v50
	v_cmp_ngt_f32_e32 vcc, s24, v65
	v_pk_add_f32 v[66:67], v[66:67], v[6:7] neg_lo:[0,1] neg_hi:[0,1]
	v_cvt_f16_f32_e32 v50, v26
	v_ldexp_f32 v27, v27, v49
	v_mul_f32_e32 v49, 0x3fb8aa3b, v64
	v_fma_f32 v69, v64, s13, -v49
	v_rndne_f32_e32 v70, v49
	v_fmac_f32_e32 v69, 0x32a5705f, v64
	v_sub_f32_e32 v49, v49, v70
	v_add_f32_e32 v49, v49, v69
	v_exp_f32_e32 v49, v49
	v_cvt_i32_f32_e32 v70, v70
	v_cndmask_b32_e32 v27, 0, v27, vcc
	v_cmp_nlt_f32_e32 vcc, s25, v65
	v_cndmask_b32_e32 v69, v41, v27, vcc
	v_ldexp_f32 v27, v49, v70
	v_cmp_ngt_f32_e32 vcc, s24, v64
	v_cndmask_b32_e32 v27, 0, v27, vcc
	v_cmp_nlt_f32_e32 vcc, s25, v64
	v_cndmask_b32_e32 v27, v41, v27, vcc
	v_pk_add_f32 v[64:65], v[26:27], v[68:69]
	v_mul_f32_e32 v26, 0x3fb8aa3b, v67
	v_cvt_f16_f32_e32 v55, v68
	v_fma_f32 v49, v67, s13, -v26
	v_rndne_f32_e32 v68, v26
	v_fmac_f32_e32 v49, 0x32a5705f, v67
	v_sub_f32_e32 v26, v26, v68
	v_add_f32_e32 v26, v26, v49
	v_cvt_i32_f32_e32 v49, v68
	v_mul_f32_e32 v68, 0x3fb8aa3b, v66
	v_fma_f32 v70, v66, s13, -v68
	v_rndne_f32_e32 v71, v68
	v_fmac_f32_e32 v70, 0x32a5705f, v66
	v_sub_f32_e32 v68, v68, v71
	v_exp_f32_e32 v26, v26
	v_add_f32_e32 v68, v68, v70
	v_exp_f32_e32 v68, v68
	v_cvt_i32_f32_e32 v70, v71
	v_ldexp_f32 v26, v26, v49
	v_cmp_ngt_f32_e32 vcc, s24, v67
	v_cndmask_b32_e32 v26, 0, v26, vcc
	v_ldexp_f32 v49, v68, v70
	v_cmp_ngt_f32_e32 vcc, s24, v66
	v_cndmask_b32_e32 v49, 0, v49, vcc
	v_cmp_nlt_f32_e32 vcc, s25, v66
	v_cndmask_b32_e32 v66, v41, v49, vcc
	v_cvt_f16_f32_e32 v49, v66
	v_cmp_nlt_f32_e32 vcc, s25, v67
	v_cndmask_b32_e32 v67, v41, v26, vcc
	v_pk_fma_f32 v[8:9], v[8:9], v[66:67], v[64:65]
	v_pk_mul_f16 v26, v49, v48 op_sel_hi:[0,1]
	v_cvt_f16_f32_e32 v48, v67
	v_cvt_f16_f32_e32 v27, v27
	;; [unrolled: 1-line block ×3, first 2 shown]
	v_pk_mul_f16 v24, v49, v24 op_sel_hi:[0,1]
	v_pk_mul_f16 v68, v48, v2 op_sel_hi:[0,1]
	;; [unrolled: 1-line block ×3, first 2 shown]
	v_add_u32_e32 v0, v31, v19
	v_pack_b32_f16 v2, v50, v27
	v_pack_b32_f16 v27, v55, v64
	ds_write2_b32 v0, v2, v27 offset1:32
	s_waitcnt vmcnt(1)
	ds_write_b128 v32, v[56:59]
	s_waitcnt vmcnt(0)
	ds_write_b128 v33, v[60:63]
	s_waitcnt lgkmcnt(0)
	s_barrier
	ds_read2_b64 v[56:59], v34 offset1:32
	ds_read_b128 v[60:63], v31
	v_pk_mul_f16 v27, v48, v3 op_sel_hi:[0,1]
	v_pk_mul_f16 v50, v48, v1 op_sel_hi:[0,1]
	ds_read2_b64 v[64:67], v34 offset0:64 offset1:96
	ds_read_b128 v[0:3], v31 offset:16
	v_pk_mul_f16 v46, v49, v46 op_sel_hi:[0,1]
	s_waitcnt lgkmcnt(2)
	v_pk_mul_f16 v55, v56, v60 op_sel_hi:[1,0]
	v_pk_fma_f16 v55, v49, v47, v55 op_sel_hi:[0,1,1]
	v_pk_mul_f16 v47, v56, v60 op_sel:[0,1]
	v_pk_mul_f16 v16, v48, v16 op_sel_hi:[0,1]
	v_pk_mul_f16 v43, v48, v43 op_sel_hi:[0,1]
	v_pk_fma_f16 v56, v48, v44, v47 op_sel_hi:[0,1,1]
	v_pk_mul_f16 v44, v57, v60 op_sel_hi:[1,0]
	v_pk_mul_f16 v20, v49, v20 op_sel_hi:[0,1]
	;; [unrolled: 1-line block ×5, first 2 shown]
	v_pk_fma_f16 v22, v49, v22, v44 op_sel_hi:[0,1,1]
	v_pk_fma_f16 v16, v57, v60, v16 op_sel:[0,1,0]
	v_pk_fma_f16 v26, v58, v60, v26 op_sel_hi:[1,0,1]
	v_pk_fma_f16 v57, v58, v60, v43 op_sel:[0,1,0]
	;; [unrolled: 2-line block ×3, first 2 shown]
	s_waitcnt lgkmcnt(1)
	v_pk_fma_f16 v59, v64, v60, v46 op_sel_hi:[1,0,1]
	ds_read2_b64 v[46:49], v34 offset0:192 offset1:224
	v_pk_fma_f16 v64, v64, v60, v42 op_sel:[0,1,0]
	v_pk_fma_f16 v68, v66, v60, v45 op_sel_hi:[1,0,1]
	ds_read2_b64 v[42:45], v34 offset0:128 offset1:160
	v_pk_fma_f16 v20, v65, v60, v20 op_sel_hi:[1,0,1]
	v_pk_fma_f16 v65, v65, v60, v69 op_sel:[0,1,0]
	v_pk_fma_f16 v27, v66, v60, v27 op_sel:[0,1,0]
	v_pk_fma_f16 v18, v67, v60, v18 op_sel_hi:[1,0,1]
	v_pk_fma_f16 v50, v67, v60, v50 op_sel:[0,1,0]
	s_waitcnt lgkmcnt(1)
	v_pk_fma_f16 v60, v46, v61, v64 op_sel:[0,1,0]
	v_pk_fma_f16 v64, v47, v61, v20 op_sel_hi:[1,0,1]
	v_add_u32_e32 v20, 0x800, v34
	s_waitcnt lgkmcnt(0)
	v_pk_fma_f16 v55, v42, v61, v55 op_sel_hi:[1,0,1]
	v_pk_fma_f16 v56, v42, v61, v56 op_sel:[0,1,0]
	v_pk_fma_f16 v22, v43, v61, v22 op_sel_hi:[1,0,1]
	v_pk_fma_f16 v16, v43, v61, v16 op_sel:[0,1,0]
	;; [unrolled: 2-line block ×5, first 2 shown]
	v_pk_fma_f16 v66, v48, v61, v68 op_sel_hi:[1,0,1]
	ds_read2_b64 v[42:45], v20 offset1:32
	v_pk_fma_f16 v27, v48, v61, v27 op_sel:[0,1,0]
	v_pk_fma_f16 v18, v49, v61, v18 op_sel_hi:[1,0,1]
	v_pk_fma_f16 v50, v49, v61, v50 op_sel:[0,1,0]
	ds_read2_b64 v[46:49], v20 offset0:64 offset1:96
	s_or_b32 s10, s6, 8
	s_mul_hi_i32 s11, s10, s14
	s_mul_i32 s10, s10, s14
	s_lshl_b64 s[10:11], s[10:11], 2
	s_waitcnt lgkmcnt(1)
	v_pk_fma_f16 v101, v44, v62, v26 op_sel_hi:[1,0,1]
	s_waitcnt lgkmcnt(0)
	v_pk_fma_f16 v108, v48, v62, v27 op_sel:[0,1,0]
	v_mov_b32_e32 v27, s11
	v_add_co_u32_e32 v26, vcc, s10, v35
	v_pk_fma_f16 v100, v43, v62, v16 op_sel:[0,1,0]
	v_pk_fma_f16 v109, v49, v62, v18 op_sel_hi:[1,0,1]
	v_add_u32_e32 v18, 0x1000, v34
	v_add_u32_e32 v16, 0x1800, v34
	v_addc_co_u32_e32 v27, vcc, v36, v27, vcc
	v_pk_fma_f16 v55, v42, v62, v55 op_sel_hi:[1,0,1]
	v_pk_fma_f16 v61, v42, v62, v56 op_sel:[0,1,0]
	v_pk_fma_f16 v22, v43, v62, v22 op_sel_hi:[1,0,1]
	v_pk_fma_f16 v102, v44, v62, v57 op_sel:[0,1,0]
	v_pk_fma_f16 v24, v45, v62, v24 op_sel_hi:[1,0,1]
	v_pk_fma_f16 v103, v45, v62, v58 op_sel:[0,1,0]
	v_pk_fma_f16 v104, v46, v62, v59 op_sel_hi:[1,0,1]
	v_pk_fma_f16 v60, v46, v62, v60 op_sel:[0,1,0]
	v_pk_fma_f16 v105, v47, v62, v64 op_sel_hi:[1,0,1]
	v_pk_fma_f16 v106, v47, v62, v65 op_sel:[0,1,0]
	v_pk_fma_f16 v107, v48, v62, v66 op_sel_hi:[1,0,1]
	v_pk_fma_f16 v50, v49, v62, v50 op_sel:[0,1,0]
	ds_read2_b64 v[42:45], v20 offset0:128 offset1:160
	ds_read2_b64 v[46:49], v20 offset0:192 offset1:224
	ds_read2_b64 v[56:59], v18 offset1:32
	ds_read2_b64 v[64:67], v18 offset0:64 offset1:96
	ds_read2_b64 v[68:71], v18 offset0:128 offset1:160
	;; [unrolled: 1-line block ×3, first 2 shown]
	ds_read2_b64 v[76:79], v16 offset1:32
	ds_read2_b64 v[80:83], v16 offset0:64 offset1:96
	ds_read2_b64 v[84:87], v16 offset0:128 offset1:160
	;; [unrolled: 1-line block ×3, first 2 shown]
	s_waitcnt lgkmcnt(0)
	s_barrier
	global_load_dwordx4 v[92:95], v[26:27], off
	global_load_dwordx4 v[96:99], v[26:27], off offset:512
	v_pk_fma_f16 v26, v42, v63, v55 op_sel_hi:[1,0,1]
	v_pk_fma_f16 v27, v42, v63, v61 op_sel:[0,1,0]
	v_pk_fma_f16 v22, v43, v63, v22 op_sel_hi:[1,0,1]
	v_pk_fma_f16 v42, v43, v63, v100 op_sel:[0,1,0]
	;; [unrolled: 2-line block ×9, first 2 shown]
	v_pk_fma_f16 v42, v57, v0, v42 op_sel:[0,1,0]
	v_pk_fma_f16 v43, v58, v0, v43 op_sel_hi:[1,0,1]
	v_pk_fma_f16 v44, v58, v0, v44 op_sel:[0,1,0]
	v_pk_fma_f16 v45, v59, v0, v45 op_sel:[0,1,0]
	v_pk_fma_f16 v50, v64, v0, v55 op_sel_hi:[1,0,1]
	v_pk_fma_f16 v46, v64, v0, v46 op_sel:[0,1,0]
	v_pk_fma_f16 v55, v65, v0, v60 op_sel_hi:[1,0,1]
	v_pk_fma_f16 v47, v65, v0, v47 op_sel:[0,1,0]
	v_pk_fma_f16 v48, v66, v0, v48 op_sel:[0,1,0]
	v_pk_fma_f16 v22, v57, v0, v22 op_sel_hi:[1,0,1]
	v_pk_fma_f16 v24, v59, v0, v24 op_sel_hi:[1,0,1]
	;; [unrolled: 1-line block ×4, first 2 shown]
	v_pk_fma_f16 v0, v67, v0, v49 op_sel:[0,1,0]
	v_pk_fma_f16 v26, v68, v1, v26 op_sel_hi:[1,0,1]
	v_pk_fma_f16 v27, v68, v1, v27 op_sel:[0,1,0]
	v_pk_fma_f16 v42, v69, v1, v42 op_sel:[0,1,0]
	v_pk_fma_f16 v43, v70, v1, v43 op_sel_hi:[1,0,1]
	v_pk_fma_f16 v44, v70, v1, v44 op_sel:[0,1,0]
	;; [unrolled: 3-line block ×3, first 2 shown]
	v_pk_fma_f16 v50, v73, v1, v55 op_sel_hi:[1,0,1]
	v_pk_fma_f16 v47, v73, v1, v47 op_sel:[0,1,0]
	v_pk_fma_f16 v48, v74, v1, v48 op_sel:[0,1,0]
	v_pk_fma_f16 v22, v69, v1, v22 op_sel_hi:[1,0,1]
	v_pk_fma_f16 v24, v71, v1, v24 op_sel_hi:[1,0,1]
	;; [unrolled: 1-line block ×4, first 2 shown]
	v_pk_fma_f16 v0, v75, v1, v0 op_sel:[0,1,0]
	v_pk_fma_f16 v1, v76, v2, v26 op_sel_hi:[1,0,1]
	v_pk_fma_f16 v26, v76, v2, v27 op_sel:[0,1,0]
	v_pk_fma_f16 v27, v77, v2, v42 op_sel:[0,1,0]
	v_pk_fma_f16 v42, v78, v2, v43 op_sel_hi:[1,0,1]
	v_pk_fma_f16 v43, v78, v2, v44 op_sel:[0,1,0]
	;; [unrolled: 3-line block ×3, first 2 shown]
	v_pk_fma_f16 v49, v81, v2, v50 op_sel_hi:[1,0,1]
	v_pk_fma_f16 v47, v81, v2, v47 op_sel:[0,1,0]
	v_pk_fma_f16 v48, v82, v2, v48 op_sel:[0,1,0]
	v_pk_fma_f16 v61, v86, v3, v42 op_sel_hi:[1,0,1]
	v_pk_fma_f16 v62, v86, v3, v43 op_sel:[0,1,0]
	v_pk_fma_f16 v63, v87, v3, v44 op_sel:[0,1,0]
	v_pk_fma_f16 v64, v88, v3, v45 op_sel_hi:[1,0,1]
	v_pk_fma_f16 v65, v88, v3, v46 op_sel:[0,1,0]
	v_pk_fma_f16 v66, v89, v3, v49 op_sel_hi:[1,0,1]
	v_pk_fma_f16 v67, v89, v3, v47 op_sel:[0,1,0]
	v_pk_fma_f16 v68, v90, v3, v48 op_sel:[0,1,0]
	s_waitcnt vmcnt(1)
	ds_write_b128 v32, v[92:95]
	s_waitcnt vmcnt(0)
	ds_write_b128 v33, v[96:99]
	s_waitcnt lgkmcnt(0)
	s_barrier
	ds_read2_b64 v[42:45], v34 offset1:32
	ds_read_b128 v[46:49], v31 offset:32
	v_pk_fma_f16 v22, v77, v2, v22 op_sel_hi:[1,0,1]
	v_pk_fma_f16 v24, v79, v2, v24 op_sel_hi:[1,0,1]
	;; [unrolled: 1-line block ×4, first 2 shown]
	v_pk_fma_f16 v0, v83, v2, v0 op_sel:[0,1,0]
	v_pk_fma_f16 v60, v84, v3, v1 op_sel_hi:[1,0,1]
	v_pk_fma_f16 v26, v84, v3, v26 op_sel:[0,1,0]
	v_pk_fma_f16 v22, v85, v3, v22 op_sel_hi:[1,0,1]
	;; [unrolled: 2-line block ×3, first 2 shown]
	v_pk_fma_f16 v50, v90, v3, v50 op_sel_hi:[1,0,1]
	v_pk_fma_f16 v55, v91, v3, v55 op_sel_hi:[1,0,1]
	v_pk_fma_f16 v69, v91, v3, v0 op_sel:[0,1,0]
	ds_read2_b64 v[56:59], v34 offset0:64 offset1:96
	ds_read_b128 v[0:3], v31 offset:48
	s_waitcnt lgkmcnt(2)
	v_pk_fma_f16 v60, v42, v46, v60 op_sel_hi:[1,0,1]
	v_pk_fma_f16 v26, v42, v46, v26 op_sel:[0,1,0]
	v_pk_fma_f16 v22, v43, v46, v22 op_sel_hi:[1,0,1]
	v_pk_fma_f16 v27, v43, v46, v27 op_sel:[0,1,0]
	;; [unrolled: 2-line block ×4, first 2 shown]
	ds_read2_b64 v[42:45], v34 offset0:128 offset1:160
	s_waitcnt lgkmcnt(2)
	v_pk_fma_f16 v64, v56, v46, v64 op_sel_hi:[1,0,1]
	v_pk_fma_f16 v65, v56, v46, v65 op_sel:[0,1,0]
	v_pk_fma_f16 v66, v57, v46, v66 op_sel_hi:[1,0,1]
	v_pk_fma_f16 v67, v57, v46, v67 op_sel:[0,1,0]
	;; [unrolled: 2-line block ×4, first 2 shown]
	ds_read2_b64 v[56:59], v34 offset0:192 offset1:224
	s_waitcnt lgkmcnt(1)
	v_pk_fma_f16 v60, v42, v47, v60 op_sel_hi:[1,0,1]
	v_pk_fma_f16 v26, v42, v47, v26 op_sel:[0,1,0]
	v_pk_fma_f16 v22, v43, v47, v22 op_sel_hi:[1,0,1]
	v_pk_fma_f16 v27, v43, v47, v27 op_sel:[0,1,0]
	;; [unrolled: 2-line block ×4, first 2 shown]
	ds_read2_b64 v[42:45], v20 offset1:32
	s_waitcnt lgkmcnt(1)
	v_pk_fma_f16 v64, v56, v47, v64 op_sel_hi:[1,0,1]
	v_pk_fma_f16 v65, v56, v47, v65 op_sel:[0,1,0]
	v_pk_fma_f16 v66, v57, v47, v66 op_sel_hi:[1,0,1]
	v_pk_fma_f16 v67, v57, v47, v67 op_sel:[0,1,0]
	;; [unrolled: 2-line block ×4, first 2 shown]
	ds_read2_b64 v[56:59], v20 offset0:64 offset1:96
	s_or_b32 s10, s6, 16
	s_mul_hi_i32 s11, s10, s14
	s_mul_i32 s10, s10, s14
	s_lshl_b64 s[10:11], s[10:11], 2
	s_waitcnt lgkmcnt(1)
	v_pk_fma_f16 v100, v42, v48, v26 op_sel:[0,1,0]
	v_pk_fma_f16 v101, v43, v48, v27 op_sel:[0,1,0]
	v_mov_b32_e32 v27, s11
	v_add_co_u32_e32 v26, vcc, s10, v35
	v_addc_co_u32_e32 v27, vcc, v36, v27, vcc
	v_pk_fma_f16 v47, v42, v48, v60 op_sel_hi:[1,0,1]
	v_pk_fma_f16 v22, v43, v48, v22 op_sel_hi:[1,0,1]
	;; [unrolled: 1-line block ×3, first 2 shown]
	v_pk_fma_f16 v103, v44, v48, v62 op_sel:[0,1,0]
	v_pk_fma_f16 v24, v45, v48, v24 op_sel_hi:[1,0,1]
	v_pk_fma_f16 v104, v45, v48, v63 op_sel:[0,1,0]
	s_waitcnt lgkmcnt(0)
	v_pk_fma_f16 v105, v56, v48, v64 op_sel_hi:[1,0,1]
	v_pk_fma_f16 v106, v56, v48, v65 op_sel:[0,1,0]
	v_pk_fma_f16 v107, v57, v48, v66 op_sel_hi:[1,0,1]
	v_pk_fma_f16 v108, v57, v48, v67 op_sel:[0,1,0]
	;; [unrolled: 2-line block ×4, first 2 shown]
	ds_read2_b64 v[42:45], v20 offset0:128 offset1:160
	ds_read2_b64 v[56:59], v20 offset0:192 offset1:224
	ds_read2_b64 v[60:63], v18 offset1:32
	ds_read2_b64 v[64:67], v18 offset0:64 offset1:96
	ds_read2_b64 v[68:71], v18 offset0:128 offset1:160
	ds_read2_b64 v[72:75], v18 offset0:192 offset1:224
	ds_read2_b64 v[76:79], v16 offset1:32
	ds_read2_b64 v[80:83], v16 offset0:64 offset1:96
	ds_read2_b64 v[84:87], v16 offset0:128 offset1:160
	;; [unrolled: 1-line block ×3, first 2 shown]
	s_waitcnt lgkmcnt(0)
	s_barrier
	global_load_dwordx4 v[92:95], v[26:27], off
	global_load_dwordx4 v[96:99], v[26:27], off offset:512
	v_pk_fma_f16 v26, v42, v49, v47 op_sel_hi:[1,0,1]
	v_pk_fma_f16 v27, v42, v49, v100 op_sel:[0,1,0]
	v_pk_fma_f16 v22, v43, v49, v22 op_sel_hi:[1,0,1]
	v_pk_fma_f16 v42, v43, v49, v101 op_sel:[0,1,0]
	;; [unrolled: 2-line block ×9, first 2 shown]
	v_pk_fma_f16 v42, v61, v0, v42 op_sel:[0,1,0]
	v_pk_fma_f16 v43, v62, v0, v43 op_sel_hi:[1,0,1]
	v_pk_fma_f16 v44, v62, v0, v44 op_sel:[0,1,0]
	v_pk_fma_f16 v45, v63, v0, v45 op_sel:[0,1,0]
	v_pk_fma_f16 v47, v64, v0, v47 op_sel_hi:[1,0,1]
	v_pk_fma_f16 v48, v64, v0, v48 op_sel:[0,1,0]
	v_pk_fma_f16 v49, v65, v0, v56 op_sel_hi:[1,0,1]
	;; [unrolled: 2-line block ×3, first 2 shown]
	v_pk_fma_f16 v22, v61, v0, v22 op_sel_hi:[1,0,1]
	v_pk_fma_f16 v24, v63, v0, v24 op_sel_hi:[1,0,1]
	v_pk_fma_f16 v57, v66, v0, v58 op_sel:[0,1,0]
	v_pk_fma_f16 v55, v67, v0, v55 op_sel_hi:[1,0,1]
	v_pk_fma_f16 v0, v67, v0, v46 op_sel:[0,1,0]
	;; [unrolled: 2-line block ×3, first 2 shown]
	v_pk_fma_f16 v42, v69, v1, v42 op_sel:[0,1,0]
	v_pk_fma_f16 v43, v70, v1, v43 op_sel_hi:[1,0,1]
	v_pk_fma_f16 v44, v70, v1, v44 op_sel:[0,1,0]
	v_pk_fma_f16 v45, v71, v1, v45 op_sel:[0,1,0]
	v_pk_fma_f16 v46, v72, v1, v47 op_sel_hi:[1,0,1]
	v_pk_fma_f16 v47, v72, v1, v48 op_sel:[0,1,0]
	v_pk_fma_f16 v48, v73, v1, v49 op_sel_hi:[1,0,1]
	v_pk_fma_f16 v49, v73, v1, v56 op_sel:[0,1,0]
	v_pk_fma_f16 v50, v74, v1, v50 op_sel_hi:[1,0,1]
	v_pk_fma_f16 v22, v69, v1, v22 op_sel_hi:[1,0,1]
	v_pk_fma_f16 v24, v71, v1, v24 op_sel_hi:[1,0,1]
	v_pk_fma_f16 v56, v74, v1, v57 op_sel:[0,1,0]
	v_pk_fma_f16 v55, v75, v1, v55 op_sel_hi:[1,0,1]
	v_pk_fma_f16 v0, v75, v1, v0 op_sel:[0,1,0]
	;; [unrolled: 2-line block ×3, first 2 shown]
	v_pk_fma_f16 v27, v77, v2, v42 op_sel:[0,1,0]
	v_pk_fma_f16 v42, v78, v2, v43 op_sel_hi:[1,0,1]
	v_pk_fma_f16 v43, v78, v2, v44 op_sel:[0,1,0]
	v_pk_fma_f16 v44, v79, v2, v45 op_sel:[0,1,0]
	v_pk_fma_f16 v45, v80, v2, v46 op_sel_hi:[1,0,1]
	v_pk_fma_f16 v46, v80, v2, v47 op_sel:[0,1,0]
	v_pk_fma_f16 v47, v81, v2, v48 op_sel_hi:[1,0,1]
	;; [unrolled: 2-line block ×3, first 2 shown]
	v_pk_fma_f16 v61, v86, v3, v42 op_sel_hi:[1,0,1]
	v_pk_fma_f16 v62, v86, v3, v43 op_sel:[0,1,0]
	v_pk_fma_f16 v63, v87, v3, v44 op_sel:[0,1,0]
	v_pk_fma_f16 v64, v88, v3, v45 op_sel_hi:[1,0,1]
	v_pk_fma_f16 v65, v88, v3, v46 op_sel:[0,1,0]
	v_pk_fma_f16 v66, v89, v3, v47 op_sel_hi:[1,0,1]
	;; [unrolled: 2-line block ×3, first 2 shown]
	s_waitcnt vmcnt(1)
	ds_write_b128 v32, v[92:95]
	s_waitcnt vmcnt(0)
	ds_write_b128 v33, v[96:99]
	s_waitcnt lgkmcnt(0)
	s_barrier
	ds_read2_b64 v[42:45], v34 offset1:32
	ds_read_b128 v[46:49], v31 offset:64
	v_pk_fma_f16 v22, v77, v2, v22 op_sel_hi:[1,0,1]
	v_pk_fma_f16 v24, v79, v2, v24 op_sel_hi:[1,0,1]
	v_pk_fma_f16 v50, v82, v2, v56 op_sel:[0,1,0]
	v_pk_fma_f16 v55, v83, v2, v55 op_sel_hi:[1,0,1]
	v_pk_fma_f16 v0, v83, v2, v0 op_sel:[0,1,0]
	v_pk_fma_f16 v60, v84, v3, v1 op_sel_hi:[1,0,1]
	v_pk_fma_f16 v26, v84, v3, v26 op_sel:[0,1,0]
	v_pk_fma_f16 v22, v85, v3, v22 op_sel_hi:[1,0,1]
	v_pk_fma_f16 v27, v85, v3, v27 op_sel:[0,1,0]
	v_pk_fma_f16 v24, v87, v3, v24 op_sel_hi:[1,0,1]
	v_pk_fma_f16 v50, v90, v3, v50 op_sel:[0,1,0]
	v_pk_fma_f16 v55, v91, v3, v55 op_sel_hi:[1,0,1]
	v_pk_fma_f16 v69, v91, v3, v0 op_sel:[0,1,0]
	ds_read2_b64 v[56:59], v34 offset0:64 offset1:96
	ds_read_b128 v[0:3], v31 offset:80
	s_waitcnt lgkmcnt(2)
	v_pk_fma_f16 v60, v42, v46, v60 op_sel_hi:[1,0,1]
	v_pk_fma_f16 v26, v42, v46, v26 op_sel:[0,1,0]
	v_pk_fma_f16 v22, v43, v46, v22 op_sel_hi:[1,0,1]
	v_pk_fma_f16 v27, v43, v46, v27 op_sel:[0,1,0]
	;; [unrolled: 2-line block ×4, first 2 shown]
	ds_read2_b64 v[42:45], v34 offset0:128 offset1:160
	s_waitcnt lgkmcnt(2)
	v_pk_fma_f16 v64, v56, v46, v64 op_sel_hi:[1,0,1]
	v_pk_fma_f16 v65, v56, v46, v65 op_sel:[0,1,0]
	v_pk_fma_f16 v66, v57, v46, v66 op_sel_hi:[1,0,1]
	v_pk_fma_f16 v67, v57, v46, v67 op_sel:[0,1,0]
	;; [unrolled: 2-line block ×4, first 2 shown]
	ds_read2_b64 v[56:59], v34 offset0:192 offset1:224
	s_waitcnt lgkmcnt(1)
	v_pk_fma_f16 v60, v42, v47, v60 op_sel_hi:[1,0,1]
	v_pk_fma_f16 v26, v42, v47, v26 op_sel:[0,1,0]
	v_pk_fma_f16 v22, v43, v47, v22 op_sel_hi:[1,0,1]
	v_pk_fma_f16 v27, v43, v47, v27 op_sel:[0,1,0]
	;; [unrolled: 2-line block ×4, first 2 shown]
	ds_read2_b64 v[42:45], v20 offset1:32
	s_waitcnt lgkmcnt(1)
	v_pk_fma_f16 v64, v56, v47, v64 op_sel_hi:[1,0,1]
	v_pk_fma_f16 v65, v56, v47, v65 op_sel:[0,1,0]
	v_pk_fma_f16 v66, v57, v47, v66 op_sel_hi:[1,0,1]
	v_pk_fma_f16 v67, v57, v47, v67 op_sel:[0,1,0]
	;; [unrolled: 2-line block ×4, first 2 shown]
	ds_read2_b64 v[56:59], v20 offset0:64 offset1:96
	s_or_b32 s10, s6, 24
	s_mul_hi_i32 s11, s10, s14
	s_mul_i32 s10, s10, s14
	s_lshl_b64 s[10:11], s[10:11], 2
	s_waitcnt lgkmcnt(1)
	v_pk_fma_f16 v100, v42, v48, v26 op_sel:[0,1,0]
	v_pk_fma_f16 v101, v43, v48, v27 op_sel:[0,1,0]
	v_mov_b32_e32 v27, s11
	v_add_co_u32_e32 v26, vcc, s10, v35
	v_addc_co_u32_e32 v27, vcc, v36, v27, vcc
	v_pk_fma_f16 v47, v42, v48, v60 op_sel_hi:[1,0,1]
	v_pk_fma_f16 v22, v43, v48, v22 op_sel_hi:[1,0,1]
	;; [unrolled: 1-line block ×3, first 2 shown]
	v_pk_fma_f16 v103, v44, v48, v62 op_sel:[0,1,0]
	v_pk_fma_f16 v24, v45, v48, v24 op_sel_hi:[1,0,1]
	v_pk_fma_f16 v104, v45, v48, v63 op_sel:[0,1,0]
	s_waitcnt lgkmcnt(0)
	v_pk_fma_f16 v105, v56, v48, v64 op_sel_hi:[1,0,1]
	v_pk_fma_f16 v106, v56, v48, v65 op_sel:[0,1,0]
	v_pk_fma_f16 v107, v57, v48, v66 op_sel_hi:[1,0,1]
	v_pk_fma_f16 v108, v57, v48, v67 op_sel:[0,1,0]
	;; [unrolled: 2-line block ×4, first 2 shown]
	ds_read2_b64 v[42:45], v20 offset0:128 offset1:160
	ds_read2_b64 v[56:59], v20 offset0:192 offset1:224
	ds_read2_b64 v[60:63], v18 offset1:32
	ds_read2_b64 v[64:67], v18 offset0:64 offset1:96
	ds_read2_b64 v[68:71], v18 offset0:128 offset1:160
	;; [unrolled: 1-line block ×3, first 2 shown]
	ds_read2_b64 v[76:79], v16 offset1:32
	ds_read2_b64 v[80:83], v16 offset0:64 offset1:96
	ds_read2_b64 v[84:87], v16 offset0:128 offset1:160
	;; [unrolled: 1-line block ×3, first 2 shown]
	s_waitcnt lgkmcnt(0)
	s_barrier
	global_load_dwordx4 v[92:95], v[26:27], off
	global_load_dwordx4 v[96:99], v[26:27], off offset:512
	v_pk_fma_f16 v26, v42, v49, v47 op_sel_hi:[1,0,1]
	v_pk_fma_f16 v27, v42, v49, v100 op_sel:[0,1,0]
	v_pk_fma_f16 v22, v43, v49, v22 op_sel_hi:[1,0,1]
	v_pk_fma_f16 v42, v43, v49, v101 op_sel:[0,1,0]
	;; [unrolled: 2-line block ×9, first 2 shown]
	v_pk_fma_f16 v42, v61, v0, v42 op_sel:[0,1,0]
	v_pk_fma_f16 v43, v62, v0, v43 op_sel_hi:[1,0,1]
	v_pk_fma_f16 v44, v62, v0, v44 op_sel:[0,1,0]
	v_pk_fma_f16 v45, v63, v0, v45 op_sel:[0,1,0]
	v_pk_fma_f16 v47, v64, v0, v47 op_sel_hi:[1,0,1]
	v_pk_fma_f16 v48, v64, v0, v48 op_sel:[0,1,0]
	v_pk_fma_f16 v49, v65, v0, v56 op_sel_hi:[1,0,1]
	;; [unrolled: 2-line block ×3, first 2 shown]
	v_pk_fma_f16 v22, v61, v0, v22 op_sel_hi:[1,0,1]
	v_pk_fma_f16 v24, v63, v0, v24 op_sel_hi:[1,0,1]
	v_pk_fma_f16 v50, v66, v0, v50 op_sel:[0,1,0]
	v_pk_fma_f16 v55, v67, v0, v55 op_sel_hi:[1,0,1]
	v_pk_fma_f16 v0, v67, v0, v46 op_sel:[0,1,0]
	;; [unrolled: 2-line block ×3, first 2 shown]
	v_pk_fma_f16 v42, v69, v1, v42 op_sel:[0,1,0]
	v_pk_fma_f16 v43, v70, v1, v43 op_sel_hi:[1,0,1]
	v_pk_fma_f16 v44, v70, v1, v44 op_sel:[0,1,0]
	v_pk_fma_f16 v45, v71, v1, v45 op_sel:[0,1,0]
	v_pk_fma_f16 v46, v72, v1, v47 op_sel_hi:[1,0,1]
	v_pk_fma_f16 v47, v72, v1, v48 op_sel:[0,1,0]
	v_pk_fma_f16 v48, v73, v1, v49 op_sel_hi:[1,0,1]
	;; [unrolled: 2-line block ×3, first 2 shown]
	v_pk_fma_f16 v22, v69, v1, v22 op_sel_hi:[1,0,1]
	v_pk_fma_f16 v24, v71, v1, v24 op_sel_hi:[1,0,1]
	v_pk_fma_f16 v50, v74, v1, v50 op_sel:[0,1,0]
	v_pk_fma_f16 v55, v75, v1, v55 op_sel_hi:[1,0,1]
	v_pk_fma_f16 v0, v75, v1, v0 op_sel:[0,1,0]
	v_pk_fma_f16 v1, v76, v2, v26 op_sel_hi:[1,0,1]
	v_pk_fma_f16 v26, v76, v2, v27 op_sel:[0,1,0]
	v_pk_fma_f16 v27, v77, v2, v42 op_sel:[0,1,0]
	v_pk_fma_f16 v42, v78, v2, v43 op_sel_hi:[1,0,1]
	v_pk_fma_f16 v43, v78, v2, v44 op_sel:[0,1,0]
	v_pk_fma_f16 v44, v79, v2, v45 op_sel:[0,1,0]
	v_pk_fma_f16 v45, v80, v2, v46 op_sel_hi:[1,0,1]
	v_pk_fma_f16 v46, v80, v2, v47 op_sel:[0,1,0]
	v_pk_fma_f16 v47, v81, v2, v48 op_sel_hi:[1,0,1]
	;; [unrolled: 2-line block ×3, first 2 shown]
	v_pk_fma_f16 v61, v86, v3, v42 op_sel_hi:[1,0,1]
	v_pk_fma_f16 v62, v86, v3, v43 op_sel:[0,1,0]
	v_pk_fma_f16 v63, v87, v3, v44 op_sel:[0,1,0]
	v_pk_fma_f16 v64, v88, v3, v45 op_sel_hi:[1,0,1]
	v_pk_fma_f16 v65, v88, v3, v46 op_sel:[0,1,0]
	v_pk_fma_f16 v66, v89, v3, v47 op_sel_hi:[1,0,1]
	;; [unrolled: 2-line block ×3, first 2 shown]
	s_waitcnt vmcnt(1)
	ds_write_b128 v32, v[92:95]
	s_waitcnt vmcnt(0)
	ds_write_b128 v33, v[96:99]
	s_waitcnt lgkmcnt(0)
	s_barrier
	ds_read2_b64 v[42:45], v34 offset1:32
	ds_read_b128 v[46:49], v31 offset:96
	v_pk_fma_f16 v22, v77, v2, v22 op_sel_hi:[1,0,1]
	v_pk_fma_f16 v24, v79, v2, v24 op_sel_hi:[1,0,1]
	v_pk_fma_f16 v50, v82, v2, v50 op_sel:[0,1,0]
	v_pk_fma_f16 v55, v83, v2, v55 op_sel_hi:[1,0,1]
	v_pk_fma_f16 v0, v83, v2, v0 op_sel:[0,1,0]
	;; [unrolled: 2-line block ×6, first 2 shown]
	ds_read2_b64 v[56:59], v34 offset0:64 offset1:96
	ds_read_b128 v[0:3], v31 offset:112
	s_waitcnt lgkmcnt(2)
	v_pk_fma_f16 v60, v42, v46, v60 op_sel_hi:[1,0,1]
	v_pk_fma_f16 v26, v42, v46, v26 op_sel:[0,1,0]
	v_pk_fma_f16 v22, v43, v46, v22 op_sel_hi:[1,0,1]
	v_pk_fma_f16 v27, v43, v46, v27 op_sel:[0,1,0]
	;; [unrolled: 2-line block ×4, first 2 shown]
	ds_read2_b64 v[42:45], v34 offset0:128 offset1:160
	s_waitcnt lgkmcnt(2)
	v_pk_fma_f16 v64, v56, v46, v64 op_sel_hi:[1,0,1]
	v_pk_fma_f16 v65, v56, v46, v65 op_sel:[0,1,0]
	v_pk_fma_f16 v66, v57, v46, v66 op_sel_hi:[1,0,1]
	v_pk_fma_f16 v67, v57, v46, v67 op_sel:[0,1,0]
	;; [unrolled: 2-line block ×4, first 2 shown]
	ds_read2_b64 v[56:59], v34 offset0:192 offset1:224
	s_waitcnt lgkmcnt(1)
	v_pk_fma_f16 v60, v42, v47, v60 op_sel_hi:[1,0,1]
	v_pk_fma_f16 v26, v42, v47, v26 op_sel:[0,1,0]
	v_pk_fma_f16 v22, v43, v47, v22 op_sel_hi:[1,0,1]
	v_pk_fma_f16 v27, v43, v47, v27 op_sel:[0,1,0]
	;; [unrolled: 2-line block ×4, first 2 shown]
	ds_read2_b64 v[42:45], v20 offset1:32
	s_waitcnt lgkmcnt(1)
	v_pk_fma_f16 v64, v56, v47, v64 op_sel_hi:[1,0,1]
	v_pk_fma_f16 v65, v56, v47, v65 op_sel:[0,1,0]
	v_pk_fma_f16 v66, v57, v47, v66 op_sel_hi:[1,0,1]
	v_pk_fma_f16 v67, v57, v47, v67 op_sel:[0,1,0]
	;; [unrolled: 2-line block ×4, first 2 shown]
	ds_read2_b64 v[56:59], v20 offset0:64 offset1:96
	s_or_b32 s10, s6, 32
	s_mul_hi_i32 s11, s10, s14
	s_mul_i32 s10, s10, s14
	s_lshl_b64 s[10:11], s[10:11], 2
	s_waitcnt lgkmcnt(1)
	v_pk_fma_f16 v100, v42, v48, v26 op_sel:[0,1,0]
	v_pk_fma_f16 v101, v43, v48, v27 op_sel:[0,1,0]
	v_mov_b32_e32 v27, s11
	v_add_co_u32_e32 v26, vcc, s10, v35
	v_addc_co_u32_e32 v27, vcc, v36, v27, vcc
	v_pk_fma_f16 v47, v42, v48, v60 op_sel_hi:[1,0,1]
	v_pk_fma_f16 v22, v43, v48, v22 op_sel_hi:[1,0,1]
	;; [unrolled: 1-line block ×3, first 2 shown]
	v_pk_fma_f16 v103, v44, v48, v62 op_sel:[0,1,0]
	v_pk_fma_f16 v24, v45, v48, v24 op_sel_hi:[1,0,1]
	v_pk_fma_f16 v104, v45, v48, v63 op_sel:[0,1,0]
	s_waitcnt lgkmcnt(0)
	v_pk_fma_f16 v105, v56, v48, v64 op_sel_hi:[1,0,1]
	v_pk_fma_f16 v106, v56, v48, v65 op_sel:[0,1,0]
	v_pk_fma_f16 v107, v57, v48, v66 op_sel_hi:[1,0,1]
	v_pk_fma_f16 v108, v57, v48, v67 op_sel:[0,1,0]
	;; [unrolled: 2-line block ×4, first 2 shown]
	ds_read2_b64 v[42:45], v20 offset0:128 offset1:160
	ds_read2_b64 v[56:59], v20 offset0:192 offset1:224
	ds_read2_b64 v[60:63], v18 offset1:32
	ds_read2_b64 v[64:67], v18 offset0:64 offset1:96
	ds_read2_b64 v[68:71], v18 offset0:128 offset1:160
	ds_read2_b64 v[72:75], v18 offset0:192 offset1:224
	ds_read2_b64 v[76:79], v16 offset1:32
	ds_read2_b64 v[80:83], v16 offset0:64 offset1:96
	ds_read2_b64 v[84:87], v16 offset0:128 offset1:160
	;; [unrolled: 1-line block ×3, first 2 shown]
	s_waitcnt lgkmcnt(0)
	s_barrier
	global_load_dwordx4 v[92:95], v[26:27], off
	global_load_dwordx4 v[96:99], v[26:27], off offset:512
	v_pk_fma_f16 v26, v42, v49, v47 op_sel_hi:[1,0,1]
	v_pk_fma_f16 v27, v42, v49, v100 op_sel:[0,1,0]
	v_pk_fma_f16 v22, v43, v49, v22 op_sel_hi:[1,0,1]
	v_pk_fma_f16 v42, v43, v49, v101 op_sel:[0,1,0]
	;; [unrolled: 2-line block ×9, first 2 shown]
	v_pk_fma_f16 v42, v61, v0, v42 op_sel:[0,1,0]
	v_pk_fma_f16 v43, v62, v0, v43 op_sel_hi:[1,0,1]
	v_pk_fma_f16 v44, v62, v0, v44 op_sel:[0,1,0]
	v_pk_fma_f16 v45, v63, v0, v45 op_sel:[0,1,0]
	v_pk_fma_f16 v47, v64, v0, v47 op_sel_hi:[1,0,1]
	v_pk_fma_f16 v48, v64, v0, v48 op_sel:[0,1,0]
	v_pk_fma_f16 v49, v65, v0, v56 op_sel_hi:[1,0,1]
	;; [unrolled: 2-line block ×3, first 2 shown]
	v_pk_fma_f16 v22, v61, v0, v22 op_sel_hi:[1,0,1]
	v_pk_fma_f16 v24, v63, v0, v24 op_sel_hi:[1,0,1]
	v_pk_fma_f16 v50, v66, v0, v50 op_sel:[0,1,0]
	v_pk_fma_f16 v55, v67, v0, v55 op_sel_hi:[1,0,1]
	v_pk_fma_f16 v0, v67, v0, v46 op_sel:[0,1,0]
	;; [unrolled: 2-line block ×3, first 2 shown]
	v_pk_fma_f16 v42, v69, v1, v42 op_sel:[0,1,0]
	v_pk_fma_f16 v43, v70, v1, v43 op_sel_hi:[1,0,1]
	v_pk_fma_f16 v44, v70, v1, v44 op_sel:[0,1,0]
	v_pk_fma_f16 v45, v71, v1, v45 op_sel:[0,1,0]
	v_pk_fma_f16 v46, v72, v1, v47 op_sel_hi:[1,0,1]
	v_pk_fma_f16 v47, v72, v1, v48 op_sel:[0,1,0]
	v_pk_fma_f16 v48, v73, v1, v49 op_sel_hi:[1,0,1]
	;; [unrolled: 2-line block ×3, first 2 shown]
	v_pk_fma_f16 v22, v69, v1, v22 op_sel_hi:[1,0,1]
	v_pk_fma_f16 v24, v71, v1, v24 op_sel_hi:[1,0,1]
	v_pk_fma_f16 v50, v74, v1, v50 op_sel:[0,1,0]
	v_pk_fma_f16 v55, v75, v1, v55 op_sel_hi:[1,0,1]
	v_pk_fma_f16 v0, v75, v1, v0 op_sel:[0,1,0]
	;; [unrolled: 2-line block ×3, first 2 shown]
	v_pk_fma_f16 v27, v77, v2, v42 op_sel:[0,1,0]
	v_pk_fma_f16 v42, v78, v2, v43 op_sel_hi:[1,0,1]
	v_pk_fma_f16 v43, v78, v2, v44 op_sel:[0,1,0]
	v_pk_fma_f16 v44, v79, v2, v45 op_sel:[0,1,0]
	v_pk_fma_f16 v45, v80, v2, v46 op_sel_hi:[1,0,1]
	v_pk_fma_f16 v46, v80, v2, v47 op_sel:[0,1,0]
	v_pk_fma_f16 v47, v81, v2, v48 op_sel_hi:[1,0,1]
	;; [unrolled: 2-line block ×3, first 2 shown]
	v_pk_fma_f16 v61, v86, v3, v42 op_sel_hi:[1,0,1]
	v_pk_fma_f16 v62, v86, v3, v43 op_sel:[0,1,0]
	v_pk_fma_f16 v63, v87, v3, v44 op_sel:[0,1,0]
	v_pk_fma_f16 v64, v88, v3, v45 op_sel_hi:[1,0,1]
	v_pk_fma_f16 v65, v88, v3, v46 op_sel:[0,1,0]
	v_pk_fma_f16 v66, v89, v3, v47 op_sel_hi:[1,0,1]
	;; [unrolled: 2-line block ×3, first 2 shown]
	s_waitcnt vmcnt(1)
	ds_write_b128 v32, v[92:95]
	s_waitcnt vmcnt(0)
	ds_write_b128 v33, v[96:99]
	s_waitcnt lgkmcnt(0)
	s_barrier
	ds_read2_b64 v[42:45], v34 offset1:32
	ds_read_b128 v[46:49], v31 offset:128
	v_pk_fma_f16 v22, v77, v2, v22 op_sel_hi:[1,0,1]
	v_pk_fma_f16 v24, v79, v2, v24 op_sel_hi:[1,0,1]
	v_pk_fma_f16 v50, v82, v2, v50 op_sel:[0,1,0]
	v_pk_fma_f16 v55, v83, v2, v55 op_sel_hi:[1,0,1]
	v_pk_fma_f16 v0, v83, v2, v0 op_sel:[0,1,0]
	;; [unrolled: 2-line block ×6, first 2 shown]
	ds_read2_b64 v[56:59], v34 offset0:64 offset1:96
	ds_read_b128 v[0:3], v31 offset:144
	s_waitcnt lgkmcnt(2)
	v_pk_fma_f16 v60, v42, v46, v60 op_sel_hi:[1,0,1]
	v_pk_fma_f16 v26, v42, v46, v26 op_sel:[0,1,0]
	v_pk_fma_f16 v22, v43, v46, v22 op_sel_hi:[1,0,1]
	v_pk_fma_f16 v27, v43, v46, v27 op_sel:[0,1,0]
	;; [unrolled: 2-line block ×4, first 2 shown]
	ds_read2_b64 v[42:45], v34 offset0:128 offset1:160
	s_waitcnt lgkmcnt(2)
	v_pk_fma_f16 v64, v56, v46, v64 op_sel_hi:[1,0,1]
	v_pk_fma_f16 v65, v56, v46, v65 op_sel:[0,1,0]
	v_pk_fma_f16 v66, v57, v46, v66 op_sel_hi:[1,0,1]
	v_pk_fma_f16 v67, v57, v46, v67 op_sel:[0,1,0]
	;; [unrolled: 2-line block ×4, first 2 shown]
	ds_read2_b64 v[56:59], v34 offset0:192 offset1:224
	s_waitcnt lgkmcnt(1)
	v_pk_fma_f16 v60, v42, v47, v60 op_sel_hi:[1,0,1]
	v_pk_fma_f16 v26, v42, v47, v26 op_sel:[0,1,0]
	v_pk_fma_f16 v22, v43, v47, v22 op_sel_hi:[1,0,1]
	v_pk_fma_f16 v27, v43, v47, v27 op_sel:[0,1,0]
	;; [unrolled: 2-line block ×4, first 2 shown]
	ds_read2_b64 v[42:45], v20 offset1:32
	s_waitcnt lgkmcnt(1)
	v_pk_fma_f16 v64, v56, v47, v64 op_sel_hi:[1,0,1]
	v_pk_fma_f16 v65, v56, v47, v65 op_sel:[0,1,0]
	v_pk_fma_f16 v66, v57, v47, v66 op_sel_hi:[1,0,1]
	v_pk_fma_f16 v67, v57, v47, v67 op_sel:[0,1,0]
	;; [unrolled: 2-line block ×4, first 2 shown]
	ds_read2_b64 v[56:59], v20 offset0:64 offset1:96
	s_or_b32 s10, s6, 40
	s_mul_hi_i32 s11, s10, s14
	s_mul_i32 s10, s10, s14
	s_lshl_b64 s[10:11], s[10:11], 2
	s_waitcnt lgkmcnt(1)
	v_pk_fma_f16 v100, v42, v48, v26 op_sel:[0,1,0]
	v_pk_fma_f16 v101, v43, v48, v27 op_sel:[0,1,0]
	v_mov_b32_e32 v27, s11
	v_add_co_u32_e32 v26, vcc, s10, v35
	v_addc_co_u32_e32 v27, vcc, v36, v27, vcc
	v_pk_fma_f16 v47, v42, v48, v60 op_sel_hi:[1,0,1]
	v_pk_fma_f16 v22, v43, v48, v22 op_sel_hi:[1,0,1]
	;; [unrolled: 1-line block ×3, first 2 shown]
	v_pk_fma_f16 v103, v44, v48, v62 op_sel:[0,1,0]
	v_pk_fma_f16 v24, v45, v48, v24 op_sel_hi:[1,0,1]
	v_pk_fma_f16 v104, v45, v48, v63 op_sel:[0,1,0]
	s_waitcnt lgkmcnt(0)
	v_pk_fma_f16 v105, v56, v48, v64 op_sel_hi:[1,0,1]
	v_pk_fma_f16 v106, v56, v48, v65 op_sel:[0,1,0]
	v_pk_fma_f16 v107, v57, v48, v66 op_sel_hi:[1,0,1]
	v_pk_fma_f16 v108, v57, v48, v67 op_sel:[0,1,0]
	;; [unrolled: 2-line block ×4, first 2 shown]
	ds_read2_b64 v[42:45], v20 offset0:128 offset1:160
	ds_read2_b64 v[56:59], v20 offset0:192 offset1:224
	ds_read2_b64 v[60:63], v18 offset1:32
	ds_read2_b64 v[64:67], v18 offset0:64 offset1:96
	ds_read2_b64 v[68:71], v18 offset0:128 offset1:160
	;; [unrolled: 1-line block ×3, first 2 shown]
	ds_read2_b64 v[76:79], v16 offset1:32
	ds_read2_b64 v[80:83], v16 offset0:64 offset1:96
	ds_read2_b64 v[84:87], v16 offset0:128 offset1:160
	;; [unrolled: 1-line block ×3, first 2 shown]
	s_waitcnt lgkmcnt(0)
	s_barrier
	global_load_dwordx4 v[92:95], v[26:27], off
	global_load_dwordx4 v[96:99], v[26:27], off offset:512
	v_pk_fma_f16 v26, v42, v49, v47 op_sel_hi:[1,0,1]
	v_pk_fma_f16 v27, v42, v49, v100 op_sel:[0,1,0]
	v_pk_fma_f16 v22, v43, v49, v22 op_sel_hi:[1,0,1]
	v_pk_fma_f16 v42, v43, v49, v101 op_sel:[0,1,0]
	;; [unrolled: 2-line block ×9, first 2 shown]
	v_pk_fma_f16 v42, v61, v0, v42 op_sel:[0,1,0]
	v_pk_fma_f16 v43, v62, v0, v43 op_sel_hi:[1,0,1]
	v_pk_fma_f16 v44, v62, v0, v44 op_sel:[0,1,0]
	v_pk_fma_f16 v45, v63, v0, v45 op_sel:[0,1,0]
	v_pk_fma_f16 v47, v64, v0, v47 op_sel_hi:[1,0,1]
	v_pk_fma_f16 v48, v64, v0, v48 op_sel:[0,1,0]
	v_pk_fma_f16 v49, v65, v0, v56 op_sel_hi:[1,0,1]
	;; [unrolled: 2-line block ×3, first 2 shown]
	v_pk_fma_f16 v22, v61, v0, v22 op_sel_hi:[1,0,1]
	v_pk_fma_f16 v24, v63, v0, v24 op_sel_hi:[1,0,1]
	v_pk_fma_f16 v50, v66, v0, v50 op_sel:[0,1,0]
	v_pk_fma_f16 v55, v67, v0, v55 op_sel_hi:[1,0,1]
	v_pk_fma_f16 v0, v67, v0, v46 op_sel:[0,1,0]
	;; [unrolled: 2-line block ×3, first 2 shown]
	v_pk_fma_f16 v42, v69, v1, v42 op_sel:[0,1,0]
	v_pk_fma_f16 v43, v70, v1, v43 op_sel_hi:[1,0,1]
	v_pk_fma_f16 v44, v70, v1, v44 op_sel:[0,1,0]
	v_pk_fma_f16 v45, v71, v1, v45 op_sel:[0,1,0]
	v_pk_fma_f16 v46, v72, v1, v47 op_sel_hi:[1,0,1]
	v_pk_fma_f16 v47, v72, v1, v48 op_sel:[0,1,0]
	v_pk_fma_f16 v48, v73, v1, v49 op_sel_hi:[1,0,1]
	;; [unrolled: 2-line block ×3, first 2 shown]
	v_pk_fma_f16 v22, v69, v1, v22 op_sel_hi:[1,0,1]
	v_pk_fma_f16 v24, v71, v1, v24 op_sel_hi:[1,0,1]
	v_pk_fma_f16 v50, v74, v1, v50 op_sel:[0,1,0]
	v_pk_fma_f16 v55, v75, v1, v55 op_sel_hi:[1,0,1]
	v_pk_fma_f16 v0, v75, v1, v0 op_sel:[0,1,0]
	;; [unrolled: 2-line block ×3, first 2 shown]
	v_pk_fma_f16 v27, v77, v2, v42 op_sel:[0,1,0]
	v_pk_fma_f16 v42, v78, v2, v43 op_sel_hi:[1,0,1]
	v_pk_fma_f16 v43, v78, v2, v44 op_sel:[0,1,0]
	v_pk_fma_f16 v44, v79, v2, v45 op_sel:[0,1,0]
	v_pk_fma_f16 v45, v80, v2, v46 op_sel_hi:[1,0,1]
	v_pk_fma_f16 v46, v80, v2, v47 op_sel:[0,1,0]
	v_pk_fma_f16 v47, v81, v2, v48 op_sel_hi:[1,0,1]
	;; [unrolled: 2-line block ×3, first 2 shown]
	v_pk_fma_f16 v61, v86, v3, v42 op_sel_hi:[1,0,1]
	v_pk_fma_f16 v62, v86, v3, v43 op_sel:[0,1,0]
	v_pk_fma_f16 v63, v87, v3, v44 op_sel:[0,1,0]
	v_pk_fma_f16 v64, v88, v3, v45 op_sel_hi:[1,0,1]
	v_pk_fma_f16 v65, v88, v3, v46 op_sel:[0,1,0]
	v_pk_fma_f16 v66, v89, v3, v47 op_sel_hi:[1,0,1]
	;; [unrolled: 2-line block ×3, first 2 shown]
	s_waitcnt vmcnt(1)
	ds_write_b128 v32, v[92:95]
	s_waitcnt vmcnt(0)
	ds_write_b128 v33, v[96:99]
	s_waitcnt lgkmcnt(0)
	s_barrier
	ds_read2_b64 v[42:45], v34 offset1:32
	ds_read_b128 v[46:49], v31 offset:160
	v_pk_fma_f16 v22, v77, v2, v22 op_sel_hi:[1,0,1]
	v_pk_fma_f16 v24, v79, v2, v24 op_sel_hi:[1,0,1]
	v_pk_fma_f16 v50, v82, v2, v50 op_sel:[0,1,0]
	v_pk_fma_f16 v55, v83, v2, v55 op_sel_hi:[1,0,1]
	v_pk_fma_f16 v0, v83, v2, v0 op_sel:[0,1,0]
	v_pk_fma_f16 v60, v84, v3, v1 op_sel_hi:[1,0,1]
	v_pk_fma_f16 v26, v84, v3, v26 op_sel:[0,1,0]
	v_pk_fma_f16 v22, v85, v3, v22 op_sel_hi:[1,0,1]
	v_pk_fma_f16 v27, v85, v3, v27 op_sel:[0,1,0]
	v_pk_fma_f16 v24, v87, v3, v24 op_sel_hi:[1,0,1]
	v_pk_fma_f16 v50, v90, v3, v50 op_sel:[0,1,0]
	v_pk_fma_f16 v55, v91, v3, v55 op_sel_hi:[1,0,1]
	v_pk_fma_f16 v69, v91, v3, v0 op_sel:[0,1,0]
	ds_read2_b64 v[56:59], v34 offset0:64 offset1:96
	ds_read_b128 v[0:3], v31 offset:176
	s_waitcnt lgkmcnt(2)
	v_pk_fma_f16 v60, v42, v46, v60 op_sel_hi:[1,0,1]
	v_pk_fma_f16 v26, v42, v46, v26 op_sel:[0,1,0]
	v_pk_fma_f16 v22, v43, v46, v22 op_sel_hi:[1,0,1]
	v_pk_fma_f16 v27, v43, v46, v27 op_sel:[0,1,0]
	;; [unrolled: 2-line block ×4, first 2 shown]
	ds_read2_b64 v[42:45], v34 offset0:128 offset1:160
	s_waitcnt lgkmcnt(2)
	v_pk_fma_f16 v64, v56, v46, v64 op_sel_hi:[1,0,1]
	v_pk_fma_f16 v65, v56, v46, v65 op_sel:[0,1,0]
	v_pk_fma_f16 v66, v57, v46, v66 op_sel_hi:[1,0,1]
	v_pk_fma_f16 v67, v57, v46, v67 op_sel:[0,1,0]
	;; [unrolled: 2-line block ×4, first 2 shown]
	ds_read2_b64 v[56:59], v34 offset0:192 offset1:224
	s_waitcnt lgkmcnt(1)
	v_pk_fma_f16 v60, v42, v47, v60 op_sel_hi:[1,0,1]
	v_pk_fma_f16 v26, v42, v47, v26 op_sel:[0,1,0]
	v_pk_fma_f16 v22, v43, v47, v22 op_sel_hi:[1,0,1]
	v_pk_fma_f16 v27, v43, v47, v27 op_sel:[0,1,0]
	;; [unrolled: 2-line block ×4, first 2 shown]
	ds_read2_b64 v[42:45], v20 offset1:32
	s_waitcnt lgkmcnt(1)
	v_pk_fma_f16 v64, v56, v47, v64 op_sel_hi:[1,0,1]
	v_pk_fma_f16 v65, v56, v47, v65 op_sel:[0,1,0]
	v_pk_fma_f16 v66, v57, v47, v66 op_sel_hi:[1,0,1]
	v_pk_fma_f16 v67, v57, v47, v67 op_sel:[0,1,0]
	;; [unrolled: 2-line block ×4, first 2 shown]
	ds_read2_b64 v[56:59], v20 offset0:64 offset1:96
	s_or_b32 s10, s6, 48
	s_mul_hi_i32 s11, s10, s14
	s_mul_i32 s10, s10, s14
	s_lshl_b64 s[10:11], s[10:11], 2
	s_waitcnt lgkmcnt(1)
	v_pk_fma_f16 v100, v42, v48, v26 op_sel:[0,1,0]
	v_pk_fma_f16 v101, v43, v48, v27 op_sel:[0,1,0]
	v_mov_b32_e32 v27, s11
	v_add_co_u32_e32 v26, vcc, s10, v35
	v_addc_co_u32_e32 v27, vcc, v36, v27, vcc
	v_pk_fma_f16 v47, v42, v48, v60 op_sel_hi:[1,0,1]
	v_pk_fma_f16 v22, v43, v48, v22 op_sel_hi:[1,0,1]
	;; [unrolled: 1-line block ×3, first 2 shown]
	v_pk_fma_f16 v103, v44, v48, v62 op_sel:[0,1,0]
	v_pk_fma_f16 v24, v45, v48, v24 op_sel_hi:[1,0,1]
	v_pk_fma_f16 v104, v45, v48, v63 op_sel:[0,1,0]
	s_waitcnt lgkmcnt(0)
	v_pk_fma_f16 v105, v56, v48, v64 op_sel_hi:[1,0,1]
	v_pk_fma_f16 v106, v56, v48, v65 op_sel:[0,1,0]
	v_pk_fma_f16 v107, v57, v48, v66 op_sel_hi:[1,0,1]
	v_pk_fma_f16 v108, v57, v48, v67 op_sel:[0,1,0]
	;; [unrolled: 2-line block ×4, first 2 shown]
	ds_read2_b64 v[42:45], v20 offset0:128 offset1:160
	ds_read2_b64 v[56:59], v20 offset0:192 offset1:224
	ds_read2_b64 v[60:63], v18 offset1:32
	ds_read2_b64 v[64:67], v18 offset0:64 offset1:96
	ds_read2_b64 v[68:71], v18 offset0:128 offset1:160
	;; [unrolled: 1-line block ×3, first 2 shown]
	ds_read2_b64 v[76:79], v16 offset1:32
	ds_read2_b64 v[80:83], v16 offset0:64 offset1:96
	ds_read2_b64 v[84:87], v16 offset0:128 offset1:160
	;; [unrolled: 1-line block ×3, first 2 shown]
	s_waitcnt lgkmcnt(0)
	s_barrier
	global_load_dwordx4 v[92:95], v[26:27], off
	global_load_dwordx4 v[96:99], v[26:27], off offset:512
	v_pk_fma_f16 v26, v42, v49, v47 op_sel_hi:[1,0,1]
	v_pk_fma_f16 v27, v42, v49, v100 op_sel:[0,1,0]
	v_pk_fma_f16 v22, v43, v49, v22 op_sel_hi:[1,0,1]
	v_pk_fma_f16 v42, v43, v49, v101 op_sel:[0,1,0]
	;; [unrolled: 2-line block ×9, first 2 shown]
	v_pk_fma_f16 v42, v61, v0, v42 op_sel:[0,1,0]
	v_pk_fma_f16 v43, v62, v0, v43 op_sel_hi:[1,0,1]
	v_pk_fma_f16 v44, v62, v0, v44 op_sel:[0,1,0]
	v_pk_fma_f16 v45, v63, v0, v45 op_sel:[0,1,0]
	v_pk_fma_f16 v47, v64, v0, v47 op_sel_hi:[1,0,1]
	v_pk_fma_f16 v48, v64, v0, v48 op_sel:[0,1,0]
	v_pk_fma_f16 v49, v65, v0, v56 op_sel_hi:[1,0,1]
	;; [unrolled: 2-line block ×3, first 2 shown]
	v_pk_fma_f16 v22, v61, v0, v22 op_sel_hi:[1,0,1]
	v_pk_fma_f16 v24, v63, v0, v24 op_sel_hi:[1,0,1]
	v_pk_fma_f16 v50, v66, v0, v50 op_sel:[0,1,0]
	v_pk_fma_f16 v55, v67, v0, v55 op_sel_hi:[1,0,1]
	v_pk_fma_f16 v0, v67, v0, v46 op_sel:[0,1,0]
	;; [unrolled: 2-line block ×3, first 2 shown]
	v_pk_fma_f16 v42, v69, v1, v42 op_sel:[0,1,0]
	v_pk_fma_f16 v43, v70, v1, v43 op_sel_hi:[1,0,1]
	v_pk_fma_f16 v44, v70, v1, v44 op_sel:[0,1,0]
	v_pk_fma_f16 v45, v71, v1, v45 op_sel:[0,1,0]
	v_pk_fma_f16 v46, v72, v1, v47 op_sel_hi:[1,0,1]
	v_pk_fma_f16 v47, v72, v1, v48 op_sel:[0,1,0]
	v_pk_fma_f16 v48, v73, v1, v49 op_sel_hi:[1,0,1]
	;; [unrolled: 2-line block ×3, first 2 shown]
	v_pk_fma_f16 v22, v69, v1, v22 op_sel_hi:[1,0,1]
	v_pk_fma_f16 v24, v71, v1, v24 op_sel_hi:[1,0,1]
	v_pk_fma_f16 v50, v74, v1, v50 op_sel:[0,1,0]
	v_pk_fma_f16 v55, v75, v1, v55 op_sel_hi:[1,0,1]
	v_pk_fma_f16 v0, v75, v1, v0 op_sel:[0,1,0]
	;; [unrolled: 2-line block ×3, first 2 shown]
	v_pk_fma_f16 v27, v77, v2, v42 op_sel:[0,1,0]
	v_pk_fma_f16 v42, v78, v2, v43 op_sel_hi:[1,0,1]
	v_pk_fma_f16 v43, v78, v2, v44 op_sel:[0,1,0]
	v_pk_fma_f16 v44, v79, v2, v45 op_sel:[0,1,0]
	v_pk_fma_f16 v45, v80, v2, v46 op_sel_hi:[1,0,1]
	v_pk_fma_f16 v46, v80, v2, v47 op_sel:[0,1,0]
	v_pk_fma_f16 v47, v81, v2, v48 op_sel_hi:[1,0,1]
	;; [unrolled: 2-line block ×3, first 2 shown]
	v_pk_fma_f16 v61, v86, v3, v42 op_sel_hi:[1,0,1]
	v_pk_fma_f16 v62, v86, v3, v43 op_sel:[0,1,0]
	v_pk_fma_f16 v63, v87, v3, v44 op_sel:[0,1,0]
	v_pk_fma_f16 v64, v88, v3, v45 op_sel_hi:[1,0,1]
	v_pk_fma_f16 v65, v88, v3, v46 op_sel:[0,1,0]
	v_pk_fma_f16 v66, v89, v3, v47 op_sel_hi:[1,0,1]
	;; [unrolled: 2-line block ×3, first 2 shown]
	s_waitcnt vmcnt(1)
	ds_write_b128 v32, v[92:95]
	s_waitcnt vmcnt(0)
	ds_write_b128 v33, v[96:99]
	s_waitcnt lgkmcnt(0)
	s_barrier
	ds_read2_b64 v[42:45], v34 offset1:32
	ds_read_b128 v[46:49], v31 offset:192
	v_pk_fma_f16 v22, v77, v2, v22 op_sel_hi:[1,0,1]
	v_pk_fma_f16 v24, v79, v2, v24 op_sel_hi:[1,0,1]
	v_pk_fma_f16 v50, v82, v2, v50 op_sel:[0,1,0]
	v_pk_fma_f16 v55, v83, v2, v55 op_sel_hi:[1,0,1]
	v_pk_fma_f16 v0, v83, v2, v0 op_sel:[0,1,0]
	;; [unrolled: 2-line block ×6, first 2 shown]
	ds_read2_b64 v[56:59], v34 offset0:64 offset1:96
	ds_read_b128 v[0:3], v31 offset:208
	s_waitcnt lgkmcnt(2)
	v_pk_fma_f16 v60, v42, v46, v60 op_sel_hi:[1,0,1]
	v_pk_fma_f16 v26, v42, v46, v26 op_sel:[0,1,0]
	v_pk_fma_f16 v22, v43, v46, v22 op_sel_hi:[1,0,1]
	v_pk_fma_f16 v27, v43, v46, v27 op_sel:[0,1,0]
	;; [unrolled: 2-line block ×4, first 2 shown]
	ds_read2_b64 v[42:45], v34 offset0:128 offset1:160
	s_waitcnt lgkmcnt(2)
	v_pk_fma_f16 v64, v56, v46, v64 op_sel_hi:[1,0,1]
	v_pk_fma_f16 v65, v56, v46, v65 op_sel:[0,1,0]
	v_pk_fma_f16 v66, v57, v46, v66 op_sel_hi:[1,0,1]
	v_pk_fma_f16 v67, v57, v46, v67 op_sel:[0,1,0]
	;; [unrolled: 2-line block ×4, first 2 shown]
	ds_read2_b64 v[56:59], v34 offset0:192 offset1:224
	s_waitcnt lgkmcnt(1)
	v_pk_fma_f16 v60, v42, v47, v60 op_sel_hi:[1,0,1]
	v_pk_fma_f16 v26, v42, v47, v26 op_sel:[0,1,0]
	v_pk_fma_f16 v22, v43, v47, v22 op_sel_hi:[1,0,1]
	v_pk_fma_f16 v27, v43, v47, v27 op_sel:[0,1,0]
	;; [unrolled: 2-line block ×4, first 2 shown]
	ds_read2_b64 v[42:45], v20 offset1:32
	s_waitcnt lgkmcnt(1)
	v_pk_fma_f16 v64, v56, v47, v64 op_sel_hi:[1,0,1]
	v_pk_fma_f16 v65, v56, v47, v65 op_sel:[0,1,0]
	v_pk_fma_f16 v66, v57, v47, v66 op_sel_hi:[1,0,1]
	v_pk_fma_f16 v67, v57, v47, v67 op_sel:[0,1,0]
	;; [unrolled: 2-line block ×4, first 2 shown]
	ds_read2_b64 v[56:59], v20 offset0:64 offset1:96
	s_or_b32 s10, s6, 56
	s_mul_hi_i32 s11, s10, s14
	s_mul_i32 s10, s10, s14
	s_lshl_b64 s[10:11], s[10:11], 2
	s_waitcnt lgkmcnt(1)
	v_pk_fma_f16 v100, v42, v48, v26 op_sel:[0,1,0]
	v_pk_fma_f16 v101, v43, v48, v27 op_sel:[0,1,0]
	v_mov_b32_e32 v27, s11
	v_add_co_u32_e32 v26, vcc, s10, v35
	v_addc_co_u32_e32 v27, vcc, v36, v27, vcc
	v_pk_fma_f16 v47, v42, v48, v60 op_sel_hi:[1,0,1]
	v_pk_fma_f16 v22, v43, v48, v22 op_sel_hi:[1,0,1]
	;; [unrolled: 1-line block ×3, first 2 shown]
	v_pk_fma_f16 v103, v44, v48, v62 op_sel:[0,1,0]
	v_pk_fma_f16 v24, v45, v48, v24 op_sel_hi:[1,0,1]
	v_pk_fma_f16 v104, v45, v48, v63 op_sel:[0,1,0]
	s_waitcnt lgkmcnt(0)
	v_pk_fma_f16 v105, v56, v48, v64 op_sel_hi:[1,0,1]
	v_pk_fma_f16 v106, v56, v48, v65 op_sel:[0,1,0]
	v_pk_fma_f16 v107, v57, v48, v66 op_sel_hi:[1,0,1]
	v_pk_fma_f16 v108, v57, v48, v67 op_sel:[0,1,0]
	;; [unrolled: 2-line block ×4, first 2 shown]
	ds_read2_b64 v[42:45], v20 offset0:128 offset1:160
	ds_read2_b64 v[56:59], v20 offset0:192 offset1:224
	ds_read2_b64 v[60:63], v18 offset1:32
	ds_read2_b64 v[64:67], v18 offset0:64 offset1:96
	ds_read2_b64 v[68:71], v18 offset0:128 offset1:160
	;; [unrolled: 1-line block ×3, first 2 shown]
	ds_read2_b64 v[76:79], v16 offset1:32
	ds_read2_b64 v[80:83], v16 offset0:64 offset1:96
	ds_read2_b64 v[84:87], v16 offset0:128 offset1:160
	;; [unrolled: 1-line block ×3, first 2 shown]
	s_waitcnt lgkmcnt(0)
	s_barrier
	global_load_dwordx4 v[92:95], v[26:27], off
	global_load_dwordx4 v[96:99], v[26:27], off offset:512
	v_pk_fma_f16 v26, v42, v49, v47 op_sel_hi:[1,0,1]
	v_pk_fma_f16 v27, v42, v49, v100 op_sel:[0,1,0]
	v_pk_fma_f16 v22, v43, v49, v22 op_sel_hi:[1,0,1]
	v_pk_fma_f16 v42, v43, v49, v101 op_sel:[0,1,0]
	;; [unrolled: 2-line block ×9, first 2 shown]
	v_pk_fma_f16 v42, v61, v0, v42 op_sel:[0,1,0]
	v_pk_fma_f16 v43, v62, v0, v43 op_sel_hi:[1,0,1]
	v_pk_fma_f16 v44, v62, v0, v44 op_sel:[0,1,0]
	v_pk_fma_f16 v45, v63, v0, v45 op_sel:[0,1,0]
	v_pk_fma_f16 v47, v64, v0, v47 op_sel_hi:[1,0,1]
	v_pk_fma_f16 v48, v64, v0, v48 op_sel:[0,1,0]
	v_pk_fma_f16 v49, v65, v0, v56 op_sel_hi:[1,0,1]
	v_pk_fma_f16 v56, v65, v0, v57 op_sel:[0,1,0]
	v_pk_fma_f16 v57, v66, v0, v100 op_sel_hi:[1,0,1]
	v_pk_fma_f16 v22, v61, v0, v22 op_sel_hi:[1,0,1]
	v_pk_fma_f16 v24, v63, v0, v24 op_sel_hi:[1,0,1]
	v_pk_fma_f16 v50, v66, v0, v50 op_sel:[0,1,0]
	v_pk_fma_f16 v55, v67, v0, v55 op_sel_hi:[1,0,1]
	v_pk_fma_f16 v0, v67, v0, v46 op_sel:[0,1,0]
	v_pk_fma_f16 v26, v68, v1, v26 op_sel_hi:[1,0,1]
	v_pk_fma_f16 v27, v68, v1, v27 op_sel:[0,1,0]
	v_pk_fma_f16 v42, v69, v1, v42 op_sel:[0,1,0]
	v_pk_fma_f16 v43, v70, v1, v43 op_sel_hi:[1,0,1]
	v_pk_fma_f16 v44, v70, v1, v44 op_sel:[0,1,0]
	v_pk_fma_f16 v45, v71, v1, v45 op_sel:[0,1,0]
	v_pk_fma_f16 v46, v72, v1, v47 op_sel_hi:[1,0,1]
	v_pk_fma_f16 v47, v72, v1, v48 op_sel:[0,1,0]
	v_pk_fma_f16 v48, v73, v1, v49 op_sel_hi:[1,0,1]
	v_pk_fma_f16 v49, v73, v1, v56 op_sel:[0,1,0]
	v_pk_fma_f16 v56, v74, v1, v57 op_sel_hi:[1,0,1]
	v_pk_fma_f16 v22, v69, v1, v22 op_sel_hi:[1,0,1]
	v_pk_fma_f16 v24, v71, v1, v24 op_sel_hi:[1,0,1]
	v_pk_fma_f16 v50, v74, v1, v50 op_sel:[0,1,0]
	v_pk_fma_f16 v55, v75, v1, v55 op_sel_hi:[1,0,1]
	v_pk_fma_f16 v0, v75, v1, v0 op_sel:[0,1,0]
	v_pk_fma_f16 v1, v76, v2, v26 op_sel_hi:[1,0,1]
	v_pk_fma_f16 v26, v76, v2, v27 op_sel:[0,1,0]
	;; [unrolled: 16-line block ×3, first 2 shown]
	v_pk_fma_f16 v63, v87, v3, v44 op_sel:[0,1,0]
	v_pk_fma_f16 v64, v88, v3, v45 op_sel_hi:[1,0,1]
	v_pk_fma_f16 v65, v88, v3, v46 op_sel:[0,1,0]
	v_pk_fma_f16 v66, v89, v3, v47 op_sel_hi:[1,0,1]
	;; [unrolled: 2-line block ×3, first 2 shown]
	s_waitcnt vmcnt(1)
	ds_write_b128 v32, v[92:95]
	s_waitcnt vmcnt(0)
	ds_write_b128 v33, v[96:99]
	s_waitcnt lgkmcnt(0)
	s_barrier
	ds_read2_b64 v[42:45], v34 offset1:32
	ds_read_b128 v[46:49], v31 offset:224
	v_pk_fma_f16 v60, v84, v3, v1 op_sel_hi:[1,0,1]
	v_pk_fma_f16 v26, v84, v3, v26 op_sel:[0,1,0]
	v_pk_fma_f16 v22, v85, v3, v22 op_sel_hi:[1,0,1]
	v_pk_fma_f16 v27, v85, v3, v27 op_sel:[0,1,0]
	;; [unrolled: 2-line block ×4, first 2 shown]
	ds_read2_b64 v[0:3], v34 offset0:64 offset1:96
	ds_read_b128 v[56:59], v31 offset:240
	s_waitcnt lgkmcnt(2)
	v_pk_fma_f16 v60, v42, v46, v60 op_sel_hi:[1,0,1]
	v_pk_fma_f16 v26, v42, v46, v26 op_sel:[0,1,0]
	v_pk_fma_f16 v22, v43, v46, v22 op_sel_hi:[1,0,1]
	v_pk_fma_f16 v27, v43, v46, v27 op_sel:[0,1,0]
	;; [unrolled: 2-line block ×4, first 2 shown]
	s_waitcnt lgkmcnt(1)
	v_pk_fma_f16 v64, v0, v46, v64 op_sel_hi:[1,0,1]
	v_pk_fma_f16 v65, v0, v46, v65 op_sel:[0,1,0]
	v_pk_fma_f16 v66, v1, v46, v66 op_sel_hi:[1,0,1]
	v_pk_fma_f16 v67, v1, v46, v67 op_sel:[0,1,0]
	v_pk_fma_f16 v68, v2, v46, v68 op_sel_hi:[1,0,1]
	ds_read2_b64 v[42:45], v34 offset0:128 offset1:160
	v_pk_fma_f16 v50, v2, v46, v50 op_sel:[0,1,0]
	v_pk_fma_f16 v55, v3, v46, v55 op_sel_hi:[1,0,1]
	v_pk_fma_f16 v46, v3, v46, v69 op_sel:[0,1,0]
	ds_read2_b64 v[0:3], v34 offset0:192 offset1:224
	s_waitcnt lgkmcnt(1)
	v_pk_fma_f16 v60, v42, v47, v60 op_sel_hi:[1,0,1]
	v_pk_fma_f16 v26, v42, v47, v26 op_sel:[0,1,0]
	v_pk_fma_f16 v22, v43, v47, v22 op_sel_hi:[1,0,1]
	v_pk_fma_f16 v27, v43, v47, v27 op_sel:[0,1,0]
	;; [unrolled: 2-line block ×4, first 2 shown]
	s_waitcnt lgkmcnt(0)
	v_pk_fma_f16 v64, v0, v47, v64 op_sel_hi:[1,0,1]
	v_pk_fma_f16 v65, v0, v47, v65 op_sel:[0,1,0]
	v_pk_fma_f16 v66, v1, v47, v66 op_sel_hi:[1,0,1]
	v_pk_fma_f16 v67, v1, v47, v67 op_sel:[0,1,0]
	v_pk_fma_f16 v68, v2, v47, v68 op_sel_hi:[1,0,1]
	ds_read2_b64 v[42:45], v20 offset1:32
	v_pk_fma_f16 v50, v2, v47, v50 op_sel:[0,1,0]
	v_pk_fma_f16 v55, v3, v47, v55 op_sel_hi:[1,0,1]
	v_pk_fma_f16 v46, v3, v47, v46 op_sel:[0,1,0]
	ds_read2_b64 v[0:3], v20 offset0:64 offset1:96
	s_waitcnt lgkmcnt(1)
	v_pk_fma_f16 v47, v42, v48, v60 op_sel_hi:[1,0,1]
	v_pk_fma_f16 v26, v42, v48, v26 op_sel:[0,1,0]
	v_pk_fma_f16 v22, v43, v48, v22 op_sel_hi:[1,0,1]
	v_pk_fma_f16 v27, v43, v48, v27 op_sel:[0,1,0]
	;; [unrolled: 2-line block ×4, first 2 shown]
	s_waitcnt lgkmcnt(0)
	v_pk_fma_f16 v63, v0, v48, v64 op_sel_hi:[1,0,1]
	v_pk_fma_f16 v64, v0, v48, v65 op_sel:[0,1,0]
	v_pk_fma_f16 v65, v1, v48, v66 op_sel_hi:[1,0,1]
	v_pk_fma_f16 v66, v1, v48, v67 op_sel:[0,1,0]
	v_pk_fma_f16 v67, v2, v48, v68 op_sel_hi:[1,0,1]
	ds_read2_b64 v[42:45], v20 offset0:128 offset1:160
	v_pk_fma_f16 v50, v2, v48, v50 op_sel:[0,1,0]
	v_pk_fma_f16 v55, v3, v48, v55 op_sel_hi:[1,0,1]
	v_pk_fma_f16 v46, v3, v48, v46 op_sel:[0,1,0]
	ds_read2_b64 v[0:3], v20 offset0:192 offset1:224
	s_waitcnt lgkmcnt(1)
	v_pk_fma_f16 v20, v42, v49, v47 op_sel_hi:[1,0,1]
	v_pk_fma_f16 v26, v42, v49, v26 op_sel:[0,1,0]
	v_pk_fma_f16 v22, v43, v49, v22 op_sel_hi:[1,0,1]
	v_pk_fma_f16 v27, v43, v49, v27 op_sel:[0,1,0]
	v_pk_fma_f16 v47, v44, v49, v60 op_sel_hi:[1,0,1]
	v_pk_fma_f16 v48, v44, v49, v61 op_sel:[0,1,0]
	v_pk_fma_f16 v24, v45, v49, v24 op_sel_hi:[1,0,1]
	v_pk_fma_f16 v60, v45, v49, v62 op_sel:[0,1,0]
	s_waitcnt lgkmcnt(0)
	v_pk_fma_f16 v61, v0, v49, v63 op_sel_hi:[1,0,1]
	v_pk_fma_f16 v62, v0, v49, v64 op_sel:[0,1,0]
	v_pk_fma_f16 v63, v1, v49, v65 op_sel_hi:[1,0,1]
	v_pk_fma_f16 v64, v1, v49, v66 op_sel:[0,1,0]
	v_pk_fma_f16 v65, v2, v49, v67 op_sel_hi:[1,0,1]
	ds_read2_b64 v[42:45], v18 offset1:32
	v_pk_fma_f16 v50, v2, v49, v50 op_sel:[0,1,0]
	v_pk_fma_f16 v55, v3, v49, v55 op_sel_hi:[1,0,1]
	v_pk_fma_f16 v46, v3, v49, v46 op_sel:[0,1,0]
	ds_read2_b64 v[0:3], v18 offset0:64 offset1:96
	s_waitcnt lgkmcnt(1)
	v_pk_fma_f16 v20, v42, v56, v20 op_sel_hi:[1,0,1]
	v_pk_fma_f16 v26, v42, v56, v26 op_sel:[0,1,0]
	v_pk_fma_f16 v22, v43, v56, v22 op_sel_hi:[1,0,1]
	v_pk_fma_f16 v27, v43, v56, v27 op_sel:[0,1,0]
	;; [unrolled: 2-line block ×4, first 2 shown]
	s_waitcnt lgkmcnt(0)
	v_pk_fma_f16 v60, v0, v56, v61 op_sel_hi:[1,0,1]
	v_pk_fma_f16 v61, v0, v56, v62 op_sel:[0,1,0]
	v_pk_fma_f16 v62, v1, v56, v63 op_sel_hi:[1,0,1]
	v_pk_fma_f16 v63, v1, v56, v64 op_sel:[0,1,0]
	v_pk_fma_f16 v64, v2, v56, v65 op_sel_hi:[1,0,1]
	ds_read2_b64 v[42:45], v18 offset0:128 offset1:160
	v_pk_fma_f16 v50, v2, v56, v50 op_sel:[0,1,0]
	v_pk_fma_f16 v55, v3, v56, v55 op_sel_hi:[1,0,1]
	v_pk_fma_f16 v46, v3, v56, v46 op_sel:[0,1,0]
	ds_read2_b64 v[0:3], v18 offset0:192 offset1:224
	s_waitcnt lgkmcnt(1)
	v_pk_fma_f16 v18, v42, v57, v20 op_sel_hi:[1,0,1]
	v_pk_fma_f16 v20, v42, v57, v26 op_sel:[0,1,0]
	v_pk_fma_f16 v26, v43, v57, v27 op_sel:[0,1,0]
	v_pk_fma_f16 v27, v44, v57, v47 op_sel_hi:[1,0,1]
	v_pk_fma_f16 v47, v44, v57, v48 op_sel:[0,1,0]
	v_pk_fma_f16 v48, v45, v57, v49 op_sel:[0,1,0]
	s_waitcnt lgkmcnt(0)
	v_pk_fma_f16 v49, v0, v57, v60 op_sel_hi:[1,0,1]
	v_pk_fma_f16 v56, v0, v57, v61 op_sel:[0,1,0]
	v_pk_fma_f16 v60, v1, v57, v62 op_sel_hi:[1,0,1]
	v_pk_fma_f16 v61, v1, v57, v63 op_sel:[0,1,0]
	;; [unrolled: 2-line block ×4, first 2 shown]
	ds_read2_b64 v[0:3], v16 offset0:64 offset1:96
	v_pk_fma_f16 v22, v43, v57, v22 op_sel_hi:[1,0,1]
	v_pk_fma_f16 v24, v45, v57, v24 op_sel_hi:[1,0,1]
	ds_read2_b64 v[42:45], v16 offset1:32
	ds_read2_b64 v[64:67], v16 offset0:192 offset1:224
	s_waitcnt lgkmcnt(2)
	v_pk_fma_f16 v49, v0, v58, v49 op_sel_hi:[1,0,1]
	v_pk_fma_f16 v0, v0, v58, v56 op_sel:[0,1,0]
	v_pk_fma_f16 v56, v1, v58, v60 op_sel_hi:[1,0,1]
	v_pk_fma_f16 v1, v1, v58, v61 op_sel:[0,1,0]
	v_pk_fma_f16 v57, v2, v58, v62 op_sel_hi:[1,0,1]
	ds_read2_b64 v[60:63], v16 offset0:128 offset1:160
	s_waitcnt lgkmcnt(0)
	s_barrier
	s_load_dword s10, s[8:9], 0x4
	v_pk_fma_f16 v18, v42, v58, v18 op_sel_hi:[1,0,1]
	v_pk_fma_f16 v20, v42, v58, v20 op_sel:[0,1,0]
	v_pk_fma_f16 v22, v43, v58, v22 op_sel_hi:[1,0,1]
	v_pk_fma_f16 v26, v43, v58, v26 op_sel:[0,1,0]
	s_waitcnt lgkmcnt(0)
	s_lshl_b32 s10, s10, 6
	v_pk_fma_f16 v27, v44, v58, v27 op_sel_hi:[1,0,1]
	v_pk_fma_f16 v42, v44, v58, v47 op_sel:[0,1,0]
	v_pk_fma_f16 v24, v45, v58, v24 op_sel_hi:[1,0,1]
	v_pk_fma_f16 v45, v45, v58, v48 op_sel:[0,1,0]
	v_pk_fma_f16 v50, v2, v58, v50 op_sel:[0,1,0]
	v_pk_fma_f16 v55, v3, v58, v55 op_sel_hi:[1,0,1]
	v_pk_fma_f16 v58, v3, v58, v46 op_sel:[0,1,0]
	s_add_i32 s6, s10, s6
	v_pk_fma_f16 v47, v60, v59, v18 op_sel_hi:[1,0,1]
	v_pk_fma_f16 v44, v60, v59, v20 op_sel:[0,1,0]
	v_pk_fma_f16 v22, v61, v59, v22 op_sel_hi:[1,0,1]
	v_pk_fma_f16 v16, v61, v59, v26 op_sel:[0,1,0]
	;; [unrolled: 2-line block ×7, first 2 shown]
	v_pk_fma_f16 v18, v67, v59, v55 op_sel_hi:[1,0,1]
	s_cmp_ge_i32 s6, s28
	v_pk_fma_f16 v1, v67, v59, v58 op_sel:[0,1,0]
	s_cbranch_scc1 .LBB30_26
.LBB30_10:                              ; =>This Inner Loop Header: Depth=1
	s_mul_hi_i32 s11, s6, s15
	s_mul_i32 s10, s6, s15
	s_lshl_b64 s[10:11], s[10:11], 2
	s_add_u32 s10, s18, s10
	s_addc_u32 s11, s19, s11
	v_mov_b32_e32 v26, s11
	v_add_co_u32_e32 v27, vcc, s10, v12
	v_addc_co_u32_e32 v28, vcc, v26, v13, vcc
	v_add_co_u32_e32 v26, vcc, v27, v37
	v_addc_co_u32_e32 v27, vcc, 0, v28, vcc
	v_mov_b32_e32 v28, s11
	v_add_co_u32_e32 v29, vcc, s10, v14
	v_addc_co_u32_e32 v49, vcc, v28, v15, vcc
	v_add_co_u32_e32 v28, vcc, v29, v37
	v_addc_co_u32_e32 v29, vcc, 0, v49, vcc
	global_load_dwordx4 v[52:55], v[26:27], off
	global_load_dwordx4 v[56:59], v[28:29], off
	v_mov_b32_e32 v51, 0
	v_mov_b32_e32 v49, 0
	;; [unrolled: 1-line block ×3, first 2 shown]
	s_waitcnt vmcnt(1)
	ds_write_b128 v21, v[52:55]
	s_waitcnt vmcnt(0)
	ds_write_b128 v23, v[56:59]
	s_waitcnt lgkmcnt(0)
	s_barrier
	ds_read_b128 v[54:57], v30
	ds_read_b128 v[58:61], v25 offset:16384
	ds_read_b128 v[62:65], v25 offset:20992
	;; [unrolled: 1-line block ×3, first 2 shown]
	s_waitcnt lgkmcnt(2)
	;;#ASMSTART
	v_dot2_f32_f16 v51, v58, v54, v51
	;;#ASMEND
	;;#ASMSTART
	v_dot2_f32_f16 v51, v59, v55, v51
	;;#ASMEND
	;; [unrolled: 3-line block ×4, first 2 shown]
	s_waitcnt lgkmcnt(0)
	;;#ASMSTART
	v_dot2_f32_f16 v49, v58, v66, v49
	;;#ASMEND
	;;#ASMSTART
	v_dot2_f32_f16 v49, v59, v67, v49
	;;#ASMEND
	v_mov_b32_e32 v52, 0
	;;#ASMSTART
	v_dot2_f32_f16 v49, v60, v68, v49
	;;#ASMEND
	;;#ASMSTART
	v_dot2_f32_f16 v49, v61, v69, v49
	;;#ASMEND
	;;#ASMSTART
	v_dot2_f32_f16 v52, v62, v54, v52
	;;#ASMEND
	;;#ASMSTART
	v_dot2_f32_f16 v52, v63, v55, v52
	;;#ASMEND
	;;#ASMSTART
	v_dot2_f32_f16 v52, v64, v56, v52
	;;#ASMEND
	;;#ASMSTART
	v_dot2_f32_f16 v52, v65, v57, v52
	;;#ASMEND
	;;#ASMSTART
	v_dot2_f32_f16 v50, v62, v66, v50
	;;#ASMEND
	;;#ASMSTART
	v_dot2_f32_f16 v50, v63, v67, v50
	;;#ASMEND
	;;#ASMSTART
	v_dot2_f32_f16 v50, v64, v68, v50
	;;#ASMEND
	;;#ASMSTART
	v_dot2_f32_f16 v50, v65, v69, v50
	;;#ASMEND
	ds_read_b128 v[54:57], v30 offset:16
	ds_read_b128 v[58:61], v25 offset:16400
	ds_read_b128 v[62:65], v25 offset:21008
	ds_read_b128 v[66:69], v30 offset:1040
	s_waitcnt lgkmcnt(2)
	;;#ASMSTART
	v_dot2_f32_f16 v51, v58, v54, v51
	;;#ASMEND
	;;#ASMSTART
	v_dot2_f32_f16 v51, v59, v55, v51
	;;#ASMEND
	;;#ASMSTART
	v_dot2_f32_f16 v51, v60, v56, v51
	;;#ASMEND
	;;#ASMSTART
	v_dot2_f32_f16 v51, v61, v57, v51
	;;#ASMEND
	s_waitcnt lgkmcnt(0)
	;;#ASMSTART
	v_dot2_f32_f16 v49, v58, v66, v49
	;;#ASMEND
	;;#ASMSTART
	v_dot2_f32_f16 v49, v59, v67, v49
	;;#ASMEND
	;;#ASMSTART
	v_dot2_f32_f16 v49, v60, v68, v49
	;;#ASMEND
	;;#ASMSTART
	v_dot2_f32_f16 v49, v61, v69, v49
	;;#ASMEND
	;;#ASMSTART
	v_dot2_f32_f16 v52, v62, v54, v52
	;;#ASMEND
	;;#ASMSTART
	v_dot2_f32_f16 v52, v63, v55, v52
	;;#ASMEND
	;;#ASMSTART
	v_dot2_f32_f16 v52, v64, v56, v52
	;;#ASMEND
	;;#ASMSTART
	v_dot2_f32_f16 v52, v65, v57, v52
	;;#ASMEND
	;;#ASMSTART
	v_dot2_f32_f16 v50, v62, v66, v50
	;;#ASMEND
	;;#ASMSTART
	v_dot2_f32_f16 v50, v63, v67, v50
	;;#ASMEND
	;;#ASMSTART
	v_dot2_f32_f16 v50, v64, v68, v50
	;;#ASMEND
	;;#ASMSTART
	v_dot2_f32_f16 v50, v65, v69, v50
	;;#ASMEND
	ds_read_b128 v[54:57], v30 offset:32
	ds_read_b128 v[58:61], v25 offset:16416
	ds_read_b128 v[62:65], v25 offset:21024
	ds_read_b128 v[66:69], v30 offset:1056
	s_waitcnt lgkmcnt(2)
	;;#ASMSTART
	v_dot2_f32_f16 v51, v58, v54, v51
	;;#ASMEND
	;;#ASMSTART
	v_dot2_f32_f16 v51, v59, v55, v51
	;;#ASMEND
	;;#ASMSTART
	v_dot2_f32_f16 v51, v60, v56, v51
	;;#ASMEND
	;;#ASMSTART
	v_dot2_f32_f16 v51, v61, v57, v51
	;;#ASMEND
	s_waitcnt lgkmcnt(0)
	;;#ASMSTART
	v_dot2_f32_f16 v49, v58, v66, v49
	;;#ASMEND
	;;#ASMSTART
	v_dot2_f32_f16 v49, v59, v67, v49
	;;#ASMEND
	;; [unrolled: 54-line block ×7, first 2 shown]
	;;#ASMSTART
	v_dot2_f32_f16 v49, v60, v68, v49
	;;#ASMEND
	;;#ASMSTART
	v_dot2_f32_f16 v49, v61, v69, v49
	;;#ASMEND
	;; [unrolled: 3-line block ×10, first 2 shown]
	s_barrier
	global_load_dwordx4 v[54:57], v[26:27], off offset:128
	global_load_dwordx4 v[58:61], v[28:29], off offset:128
	s_waitcnt vmcnt(1)
	ds_write_b128 v21, v[54:57]
	s_waitcnt vmcnt(0)
	ds_write_b128 v23, v[58:61]
	s_waitcnt lgkmcnt(0)
	s_barrier
	ds_read_b128 v[54:57], v30 offset:128
	ds_read_b128 v[58:61], v25 offset:16384
	ds_read_b128 v[62:65], v25 offset:20992
	ds_read_b128 v[66:69], v30 offset:1152
	s_waitcnt lgkmcnt(2)
	;;#ASMSTART
	v_dot2_f32_f16 v51, v58, v54, v51
	;;#ASMEND
	;;#ASMSTART
	v_dot2_f32_f16 v51, v59, v55, v51
	;;#ASMEND
	;;#ASMSTART
	v_dot2_f32_f16 v51, v60, v56, v51
	;;#ASMEND
	;;#ASMSTART
	v_dot2_f32_f16 v51, v61, v57, v51
	;;#ASMEND
	s_waitcnt lgkmcnt(0)
	;;#ASMSTART
	v_dot2_f32_f16 v49, v58, v66, v49
	;;#ASMEND
	;;#ASMSTART
	v_dot2_f32_f16 v49, v59, v67, v49
	;;#ASMEND
	;;#ASMSTART
	v_dot2_f32_f16 v49, v60, v68, v49
	;;#ASMEND
	;;#ASMSTART
	v_dot2_f32_f16 v49, v61, v69, v49
	;;#ASMEND
	;;#ASMSTART
	v_dot2_f32_f16 v52, v62, v54, v52
	;;#ASMEND
	;;#ASMSTART
	v_dot2_f32_f16 v52, v63, v55, v52
	;;#ASMEND
	;;#ASMSTART
	v_dot2_f32_f16 v52, v64, v56, v52
	;;#ASMEND
	;;#ASMSTART
	v_dot2_f32_f16 v52, v65, v57, v52
	;;#ASMEND
	;;#ASMSTART
	v_dot2_f32_f16 v50, v62, v66, v50
	;;#ASMEND
	;;#ASMSTART
	v_dot2_f32_f16 v50, v63, v67, v50
	;;#ASMEND
	;;#ASMSTART
	v_dot2_f32_f16 v50, v64, v68, v50
	;;#ASMEND
	;;#ASMSTART
	v_dot2_f32_f16 v50, v65, v69, v50
	;;#ASMEND
	ds_read_b128 v[54:57], v30 offset:144
	ds_read_b128 v[58:61], v25 offset:16400
	ds_read_b128 v[62:65], v25 offset:21008
	ds_read_b128 v[66:69], v30 offset:1168
	s_waitcnt lgkmcnt(2)
	;;#ASMSTART
	v_dot2_f32_f16 v51, v58, v54, v51
	;;#ASMEND
	;;#ASMSTART
	v_dot2_f32_f16 v51, v59, v55, v51
	;;#ASMEND
	;;#ASMSTART
	v_dot2_f32_f16 v51, v60, v56, v51
	;;#ASMEND
	;;#ASMSTART
	v_dot2_f32_f16 v51, v61, v57, v51
	;;#ASMEND
	s_waitcnt lgkmcnt(0)
	;;#ASMSTART
	v_dot2_f32_f16 v49, v58, v66, v49
	;;#ASMEND
	;;#ASMSTART
	v_dot2_f32_f16 v49, v59, v67, v49
	;;#ASMEND
	;;#ASMSTART
	v_dot2_f32_f16 v49, v60, v68, v49
	;;#ASMEND
	;;#ASMSTART
	v_dot2_f32_f16 v49, v61, v69, v49
	;;#ASMEND
	;;#ASMSTART
	v_dot2_f32_f16 v52, v62, v54, v52
	;;#ASMEND
	;;#ASMSTART
	v_dot2_f32_f16 v52, v63, v55, v52
	;;#ASMEND
	;;#ASMSTART
	v_dot2_f32_f16 v52, v64, v56, v52
	;;#ASMEND
	;;#ASMSTART
	v_dot2_f32_f16 v52, v65, v57, v52
	;;#ASMEND
	;;#ASMSTART
	v_dot2_f32_f16 v50, v62, v66, v50
	;;#ASMEND
	;;#ASMSTART
	v_dot2_f32_f16 v50, v63, v67, v50
	;;#ASMEND
	;;#ASMSTART
	v_dot2_f32_f16 v50, v64, v68, v50
	;;#ASMEND
	;;#ASMSTART
	v_dot2_f32_f16 v50, v65, v69, v50
	;;#ASMEND
	ds_read_b128 v[54:57], v30 offset:160
	ds_read_b128 v[58:61], v25 offset:16416
	ds_read_b128 v[62:65], v25 offset:21024
	ds_read_b128 v[66:69], v30 offset:1184
	s_waitcnt lgkmcnt(2)
	;;#ASMSTART
	v_dot2_f32_f16 v51, v58, v54, v51
	;;#ASMEND
	;;#ASMSTART
	v_dot2_f32_f16 v51, v59, v55, v51
	;;#ASMEND
	;;#ASMSTART
	v_dot2_f32_f16 v51, v60, v56, v51
	;;#ASMEND
	;;#ASMSTART
	v_dot2_f32_f16 v51, v61, v57, v51
	;;#ASMEND
	s_waitcnt lgkmcnt(0)
	;;#ASMSTART
	v_dot2_f32_f16 v49, v58, v66, v49
	;;#ASMEND
	;;#ASMSTART
	v_dot2_f32_f16 v49, v59, v67, v49
	;;#ASMEND
	;;#ASMSTART
	v_dot2_f32_f16 v49, v60, v68, v49
	;;#ASMEND
	;;#ASMSTART
	v_dot2_f32_f16 v49, v61, v69, v49
	;;#ASMEND
	;;#ASMSTART
	v_dot2_f32_f16 v52, v62, v54, v52
	;;#ASMEND
	;;#ASMSTART
	v_dot2_f32_f16 v52, v63, v55, v52
	;;#ASMEND
	;;#ASMSTART
	v_dot2_f32_f16 v52, v64, v56, v52
	;;#ASMEND
	;;#ASMSTART
	v_dot2_f32_f16 v52, v65, v57, v52
	;;#ASMEND
	;;#ASMSTART
	v_dot2_f32_f16 v50, v62, v66, v50
	;;#ASMEND
	;;#ASMSTART
	v_dot2_f32_f16 v50, v63, v67, v50
	;;#ASMEND
	;;#ASMSTART
	v_dot2_f32_f16 v50, v64, v68, v50
	;;#ASMEND
	;;#ASMSTART
	v_dot2_f32_f16 v50, v65, v69, v50
	;;#ASMEND
	ds_read_b128 v[54:57], v30 offset:176
	ds_read_b128 v[58:61], v25 offset:16432
	ds_read_b128 v[62:65], v25 offset:21040
	ds_read_b128 v[66:69], v30 offset:1200
	s_waitcnt lgkmcnt(2)
	;;#ASMSTART
	v_dot2_f32_f16 v51, v58, v54, v51
	;;#ASMEND
	;;#ASMSTART
	v_dot2_f32_f16 v51, v59, v55, v51
	;;#ASMEND
	;;#ASMSTART
	v_dot2_f32_f16 v51, v60, v56, v51
	;;#ASMEND
	;;#ASMSTART
	v_dot2_f32_f16 v51, v61, v57, v51
	;;#ASMEND
	s_waitcnt lgkmcnt(0)
	;;#ASMSTART
	v_dot2_f32_f16 v49, v58, v66, v49
	;;#ASMEND
	;;#ASMSTART
	v_dot2_f32_f16 v49, v59, v67, v49
	;;#ASMEND
	;;#ASMSTART
	v_dot2_f32_f16 v49, v60, v68, v49
	;;#ASMEND
	;;#ASMSTART
	v_dot2_f32_f16 v49, v61, v69, v49
	;;#ASMEND
	;;#ASMSTART
	v_dot2_f32_f16 v52, v62, v54, v52
	;;#ASMEND
	;;#ASMSTART
	v_dot2_f32_f16 v52, v63, v55, v52
	;;#ASMEND
	;;#ASMSTART
	v_dot2_f32_f16 v52, v64, v56, v52
	;;#ASMEND
	;;#ASMSTART
	v_dot2_f32_f16 v52, v65, v57, v52
	;;#ASMEND
	;;#ASMSTART
	v_dot2_f32_f16 v50, v62, v66, v50
	;;#ASMEND
	;;#ASMSTART
	v_dot2_f32_f16 v50, v63, v67, v50
	;;#ASMEND
	;;#ASMSTART
	v_dot2_f32_f16 v50, v64, v68, v50
	;;#ASMEND
	;;#ASMSTART
	v_dot2_f32_f16 v50, v65, v69, v50
	;;#ASMEND
	ds_read_b128 v[54:57], v30 offset:192
	ds_read_b128 v[58:61], v25 offset:16448
	ds_read_b128 v[62:65], v25 offset:21056
	ds_read_b128 v[66:69], v30 offset:1216
	s_waitcnt lgkmcnt(2)
	;;#ASMSTART
	v_dot2_f32_f16 v51, v58, v54, v51
	;;#ASMEND
	;;#ASMSTART
	v_dot2_f32_f16 v51, v59, v55, v51
	;;#ASMEND
	;;#ASMSTART
	v_dot2_f32_f16 v51, v60, v56, v51
	;;#ASMEND
	;;#ASMSTART
	v_dot2_f32_f16 v51, v61, v57, v51
	;;#ASMEND
	s_waitcnt lgkmcnt(0)
	;;#ASMSTART
	v_dot2_f32_f16 v49, v58, v66, v49
	;;#ASMEND
	;;#ASMSTART
	v_dot2_f32_f16 v49, v59, v67, v49
	;;#ASMEND
	;;#ASMSTART
	v_dot2_f32_f16 v49, v60, v68, v49
	;;#ASMEND
	;;#ASMSTART
	v_dot2_f32_f16 v49, v61, v69, v49
	;;#ASMEND
	;;#ASMSTART
	v_dot2_f32_f16 v52, v62, v54, v52
	;;#ASMEND
	;;#ASMSTART
	v_dot2_f32_f16 v52, v63, v55, v52
	;;#ASMEND
	;;#ASMSTART
	v_dot2_f32_f16 v52, v64, v56, v52
	;;#ASMEND
	;;#ASMSTART
	v_dot2_f32_f16 v52, v65, v57, v52
	;;#ASMEND
	;;#ASMSTART
	v_dot2_f32_f16 v50, v62, v66, v50
	;;#ASMEND
	;;#ASMSTART
	v_dot2_f32_f16 v50, v63, v67, v50
	;;#ASMEND
	;;#ASMSTART
	v_dot2_f32_f16 v50, v64, v68, v50
	;;#ASMEND
	;;#ASMSTART
	v_dot2_f32_f16 v50, v65, v69, v50
	;;#ASMEND
	ds_read_b128 v[54:57], v30 offset:208
	ds_read_b128 v[58:61], v25 offset:16464
	ds_read_b128 v[62:65], v25 offset:21072
	ds_read_b128 v[66:69], v30 offset:1232
	s_waitcnt lgkmcnt(2)
	;;#ASMSTART
	v_dot2_f32_f16 v51, v58, v54, v51
	;;#ASMEND
	;;#ASMSTART
	v_dot2_f32_f16 v51, v59, v55, v51
	;;#ASMEND
	;;#ASMSTART
	v_dot2_f32_f16 v51, v60, v56, v51
	;;#ASMEND
	;;#ASMSTART
	v_dot2_f32_f16 v51, v61, v57, v51
	;;#ASMEND
	s_waitcnt lgkmcnt(0)
	;;#ASMSTART
	v_dot2_f32_f16 v49, v58, v66, v49
	;;#ASMEND
	;;#ASMSTART
	v_dot2_f32_f16 v49, v59, v67, v49
	;;#ASMEND
	;;#ASMSTART
	v_dot2_f32_f16 v49, v60, v68, v49
	;;#ASMEND
	;;#ASMSTART
	v_dot2_f32_f16 v49, v61, v69, v49
	;;#ASMEND
	;;#ASMSTART
	v_dot2_f32_f16 v52, v62, v54, v52
	;;#ASMEND
	;;#ASMSTART
	v_dot2_f32_f16 v52, v63, v55, v52
	;;#ASMEND
	;;#ASMSTART
	v_dot2_f32_f16 v52, v64, v56, v52
	;;#ASMEND
	;;#ASMSTART
	v_dot2_f32_f16 v52, v65, v57, v52
	;;#ASMEND
	;;#ASMSTART
	v_dot2_f32_f16 v50, v62, v66, v50
	;;#ASMEND
	;;#ASMSTART
	v_dot2_f32_f16 v50, v63, v67, v50
	;;#ASMEND
	;;#ASMSTART
	v_dot2_f32_f16 v50, v64, v68, v50
	;;#ASMEND
	;;#ASMSTART
	v_dot2_f32_f16 v50, v65, v69, v50
	;;#ASMEND
	ds_read_b128 v[54:57], v30 offset:224
	ds_read_b128 v[58:61], v25 offset:16480
	ds_read_b128 v[62:65], v25 offset:21088
	ds_read_b128 v[66:69], v30 offset:1248
	s_waitcnt lgkmcnt(2)
	;;#ASMSTART
	v_dot2_f32_f16 v51, v58, v54, v51
	;;#ASMEND
	;;#ASMSTART
	v_dot2_f32_f16 v51, v59, v55, v51
	;;#ASMEND
	;;#ASMSTART
	v_dot2_f32_f16 v51, v60, v56, v51
	;;#ASMEND
	;;#ASMSTART
	v_dot2_f32_f16 v51, v61, v57, v51
	;;#ASMEND
	s_waitcnt lgkmcnt(0)
	;;#ASMSTART
	v_dot2_f32_f16 v49, v58, v66, v49
	;;#ASMEND
	;;#ASMSTART
	v_dot2_f32_f16 v49, v59, v67, v49
	;;#ASMEND
	;;#ASMSTART
	v_dot2_f32_f16 v49, v60, v68, v49
	;;#ASMEND
	;;#ASMSTART
	v_dot2_f32_f16 v49, v61, v69, v49
	;;#ASMEND
	;;#ASMSTART
	v_dot2_f32_f16 v52, v62, v54, v52
	;;#ASMEND
	;;#ASMSTART
	v_dot2_f32_f16 v52, v63, v55, v52
	;;#ASMEND
	;;#ASMSTART
	v_dot2_f32_f16 v52, v64, v56, v52
	;;#ASMEND
	;;#ASMSTART
	v_dot2_f32_f16 v52, v65, v57, v52
	;;#ASMEND
	;;#ASMSTART
	v_dot2_f32_f16 v50, v62, v66, v50
	;;#ASMEND
	;;#ASMSTART
	v_dot2_f32_f16 v50, v63, v67, v50
	;;#ASMEND
	;;#ASMSTART
	v_dot2_f32_f16 v50, v64, v68, v50
	;;#ASMEND
	;;#ASMSTART
	v_dot2_f32_f16 v50, v65, v69, v50
	;;#ASMEND
	ds_read_b128 v[54:57], v30 offset:240
	ds_read_b128 v[58:61], v25 offset:16496
	ds_read_b128 v[62:65], v25 offset:21104
	ds_read_b128 v[66:69], v30 offset:1264
	s_waitcnt lgkmcnt(2)
	;;#ASMSTART
	v_dot2_f32_f16 v51, v58, v54, v51
	;;#ASMEND
	;;#ASMSTART
	v_dot2_f32_f16 v51, v59, v55, v51
	;;#ASMEND
	;;#ASMSTART
	v_dot2_f32_f16 v51, v60, v56, v51
	;;#ASMEND
	;;#ASMSTART
	v_dot2_f32_f16 v51, v61, v57, v51
	;;#ASMEND
	s_waitcnt lgkmcnt(0)
	;;#ASMSTART
	v_dot2_f32_f16 v49, v58, v66, v49
	;;#ASMEND
	;;#ASMSTART
	v_dot2_f32_f16 v49, v59, v67, v49
	;;#ASMEND
	;;#ASMSTART
	v_dot2_f32_f16 v49, v60, v68, v49
	;;#ASMEND
	;;#ASMSTART
	v_dot2_f32_f16 v49, v61, v69, v49
	;;#ASMEND
	;;#ASMSTART
	v_dot2_f32_f16 v52, v62, v54, v52
	;;#ASMEND
	;;#ASMSTART
	v_dot2_f32_f16 v52, v63, v55, v52
	;;#ASMEND
	;;#ASMSTART
	v_dot2_f32_f16 v52, v64, v56, v52
	;;#ASMEND
	;;#ASMSTART
	v_dot2_f32_f16 v52, v65, v57, v52
	;;#ASMEND
	;;#ASMSTART
	v_dot2_f32_f16 v50, v62, v66, v50
	;;#ASMEND
	;;#ASMSTART
	v_dot2_f32_f16 v50, v63, v67, v50
	;;#ASMEND
	;;#ASMSTART
	v_dot2_f32_f16 v50, v64, v68, v50
	;;#ASMEND
	;;#ASMSTART
	v_dot2_f32_f16 v50, v65, v69, v50
	;;#ASMEND
	s_barrier
	global_load_dwordx4 v[54:57], v[26:27], off offset:256
	global_load_dwordx4 v[58:61], v[28:29], off offset:256
	s_waitcnt vmcnt(1)
	ds_write_b128 v21, v[54:57]
	s_waitcnt vmcnt(0)
	ds_write_b128 v23, v[58:61]
	s_waitcnt lgkmcnt(0)
	s_barrier
	ds_read_b128 v[54:57], v30 offset:256
	ds_read_b128 v[58:61], v25 offset:16384
	ds_read_b128 v[62:65], v25 offset:20992
	ds_read_b128 v[66:69], v30 offset:1280
	s_waitcnt lgkmcnt(2)
	;;#ASMSTART
	v_dot2_f32_f16 v51, v58, v54, v51
	;;#ASMEND
	;;#ASMSTART
	v_dot2_f32_f16 v51, v59, v55, v51
	;;#ASMEND
	;;#ASMSTART
	v_dot2_f32_f16 v51, v60, v56, v51
	;;#ASMEND
	;;#ASMSTART
	v_dot2_f32_f16 v51, v61, v57, v51
	;;#ASMEND
	s_waitcnt lgkmcnt(0)
	;;#ASMSTART
	v_dot2_f32_f16 v49, v58, v66, v49
	;;#ASMEND
	;;#ASMSTART
	v_dot2_f32_f16 v49, v59, v67, v49
	;;#ASMEND
	;;#ASMSTART
	v_dot2_f32_f16 v49, v60, v68, v49
	;;#ASMEND
	;;#ASMSTART
	v_dot2_f32_f16 v49, v61, v69, v49
	;;#ASMEND
	;;#ASMSTART
	v_dot2_f32_f16 v52, v62, v54, v52
	;;#ASMEND
	;;#ASMSTART
	v_dot2_f32_f16 v52, v63, v55, v52
	;;#ASMEND
	;;#ASMSTART
	v_dot2_f32_f16 v52, v64, v56, v52
	;;#ASMEND
	;;#ASMSTART
	v_dot2_f32_f16 v52, v65, v57, v52
	;;#ASMEND
	;;#ASMSTART
	v_dot2_f32_f16 v50, v62, v66, v50
	;;#ASMEND
	;;#ASMSTART
	v_dot2_f32_f16 v50, v63, v67, v50
	;;#ASMEND
	;;#ASMSTART
	v_dot2_f32_f16 v50, v64, v68, v50
	;;#ASMEND
	;;#ASMSTART
	v_dot2_f32_f16 v50, v65, v69, v50
	;;#ASMEND
	ds_read_b128 v[54:57], v30 offset:272
	ds_read_b128 v[58:61], v25 offset:16400
	ds_read_b128 v[62:65], v25 offset:21008
	ds_read_b128 v[66:69], v30 offset:1296
	s_waitcnt lgkmcnt(2)
	;;#ASMSTART
	v_dot2_f32_f16 v51, v58, v54, v51
	;;#ASMEND
	;;#ASMSTART
	v_dot2_f32_f16 v51, v59, v55, v51
	;;#ASMEND
	;;#ASMSTART
	v_dot2_f32_f16 v51, v60, v56, v51
	;;#ASMEND
	;;#ASMSTART
	v_dot2_f32_f16 v51, v61, v57, v51
	;;#ASMEND
	s_waitcnt lgkmcnt(0)
	;;#ASMSTART
	v_dot2_f32_f16 v49, v58, v66, v49
	;;#ASMEND
	;;#ASMSTART
	v_dot2_f32_f16 v49, v59, v67, v49
	;;#ASMEND
	;;#ASMSTART
	v_dot2_f32_f16 v49, v60, v68, v49
	;;#ASMEND
	;;#ASMSTART
	v_dot2_f32_f16 v49, v61, v69, v49
	;;#ASMEND
	;;#ASMSTART
	v_dot2_f32_f16 v52, v62, v54, v52
	;;#ASMEND
	;;#ASMSTART
	v_dot2_f32_f16 v52, v63, v55, v52
	;;#ASMEND
	;;#ASMSTART
	v_dot2_f32_f16 v52, v64, v56, v52
	;;#ASMEND
	;;#ASMSTART
	v_dot2_f32_f16 v52, v65, v57, v52
	;;#ASMEND
	;;#ASMSTART
	v_dot2_f32_f16 v50, v62, v66, v50
	;;#ASMEND
	;;#ASMSTART
	v_dot2_f32_f16 v50, v63, v67, v50
	;;#ASMEND
	;;#ASMSTART
	v_dot2_f32_f16 v50, v64, v68, v50
	;;#ASMEND
	;;#ASMSTART
	v_dot2_f32_f16 v50, v65, v69, v50
	;;#ASMEND
	;; [unrolled: 54-line block ×8, first 2 shown]
	s_barrier
	global_load_dwordx4 v[54:57], v[26:27], off offset:384
	global_load_dwordx4 v[58:61], v[28:29], off offset:384
	s_waitcnt vmcnt(1)
	ds_write_b128 v21, v[54:57]
	s_waitcnt vmcnt(0)
	ds_write_b128 v23, v[58:61]
	s_waitcnt lgkmcnt(0)
	s_barrier
	ds_read_b128 v[54:57], v30 offset:384
	ds_read_b128 v[58:61], v25 offset:16384
	ds_read_b128 v[62:65], v25 offset:20992
	ds_read_b128 v[66:69], v30 offset:1408
	s_waitcnt lgkmcnt(2)
	;;#ASMSTART
	v_dot2_f32_f16 v51, v58, v54, v51
	;;#ASMEND
	;;#ASMSTART
	v_dot2_f32_f16 v51, v59, v55, v51
	;;#ASMEND
	;;#ASMSTART
	v_dot2_f32_f16 v51, v60, v56, v51
	;;#ASMEND
	;;#ASMSTART
	v_dot2_f32_f16 v51, v61, v57, v51
	;;#ASMEND
	s_waitcnt lgkmcnt(0)
	;;#ASMSTART
	v_dot2_f32_f16 v49, v58, v66, v49
	;;#ASMEND
	;;#ASMSTART
	v_dot2_f32_f16 v49, v59, v67, v49
	;;#ASMEND
	;;#ASMSTART
	v_dot2_f32_f16 v49, v60, v68, v49
	;;#ASMEND
	;;#ASMSTART
	v_dot2_f32_f16 v49, v61, v69, v49
	;;#ASMEND
	;;#ASMSTART
	v_dot2_f32_f16 v52, v62, v54, v52
	;;#ASMEND
	;;#ASMSTART
	v_dot2_f32_f16 v52, v63, v55, v52
	;;#ASMEND
	;;#ASMSTART
	v_dot2_f32_f16 v52, v64, v56, v52
	;;#ASMEND
	;;#ASMSTART
	v_dot2_f32_f16 v52, v65, v57, v52
	;;#ASMEND
	;;#ASMSTART
	v_dot2_f32_f16 v50, v62, v66, v50
	;;#ASMEND
	;;#ASMSTART
	v_dot2_f32_f16 v50, v63, v67, v50
	;;#ASMEND
	;;#ASMSTART
	v_dot2_f32_f16 v50, v64, v68, v50
	;;#ASMEND
	;;#ASMSTART
	v_dot2_f32_f16 v50, v65, v69, v50
	;;#ASMEND
	ds_read_b128 v[54:57], v30 offset:400
	ds_read_b128 v[58:61], v25 offset:16400
	ds_read_b128 v[62:65], v25 offset:21008
	ds_read_b128 v[66:69], v30 offset:1424
	s_waitcnt lgkmcnt(2)
	;;#ASMSTART
	v_dot2_f32_f16 v51, v58, v54, v51
	;;#ASMEND
	;;#ASMSTART
	v_dot2_f32_f16 v51, v59, v55, v51
	;;#ASMEND
	;;#ASMSTART
	v_dot2_f32_f16 v51, v60, v56, v51
	;;#ASMEND
	;;#ASMSTART
	v_dot2_f32_f16 v51, v61, v57, v51
	;;#ASMEND
	s_waitcnt lgkmcnt(0)
	;;#ASMSTART
	v_dot2_f32_f16 v49, v58, v66, v49
	;;#ASMEND
	;;#ASMSTART
	v_dot2_f32_f16 v49, v59, v67, v49
	;;#ASMEND
	;;#ASMSTART
	v_dot2_f32_f16 v49, v60, v68, v49
	;;#ASMEND
	;;#ASMSTART
	v_dot2_f32_f16 v49, v61, v69, v49
	;;#ASMEND
	;;#ASMSTART
	v_dot2_f32_f16 v52, v62, v54, v52
	;;#ASMEND
	;;#ASMSTART
	v_dot2_f32_f16 v52, v63, v55, v52
	;;#ASMEND
	;;#ASMSTART
	v_dot2_f32_f16 v52, v64, v56, v52
	;;#ASMEND
	;;#ASMSTART
	v_dot2_f32_f16 v52, v65, v57, v52
	;;#ASMEND
	;;#ASMSTART
	v_dot2_f32_f16 v50, v62, v66, v50
	;;#ASMEND
	;;#ASMSTART
	v_dot2_f32_f16 v50, v63, v67, v50
	;;#ASMEND
	;;#ASMSTART
	v_dot2_f32_f16 v50, v64, v68, v50
	;;#ASMEND
	;;#ASMSTART
	v_dot2_f32_f16 v50, v65, v69, v50
	;;#ASMEND
	;; [unrolled: 54-line block ×8, first 2 shown]
	s_barrier
	global_load_dwordx4 v[54:57], v[26:27], off offset:512
	global_load_dwordx4 v[58:61], v[28:29], off offset:512
	s_waitcnt vmcnt(1)
	ds_write_b128 v21, v[54:57]
	s_waitcnt vmcnt(0)
	ds_write_b128 v23, v[58:61]
	s_waitcnt lgkmcnt(0)
	s_barrier
	ds_read_b128 v[54:57], v30 offset:512
	ds_read_b128 v[58:61], v25 offset:16384
	ds_read_b128 v[62:65], v25 offset:20992
	ds_read_b128 v[66:69], v30 offset:1536
	s_waitcnt lgkmcnt(2)
	;;#ASMSTART
	v_dot2_f32_f16 v51, v58, v54, v51
	;;#ASMEND
	;;#ASMSTART
	v_dot2_f32_f16 v51, v59, v55, v51
	;;#ASMEND
	;;#ASMSTART
	v_dot2_f32_f16 v51, v60, v56, v51
	;;#ASMEND
	;;#ASMSTART
	v_dot2_f32_f16 v51, v61, v57, v51
	;;#ASMEND
	s_waitcnt lgkmcnt(0)
	;;#ASMSTART
	v_dot2_f32_f16 v49, v58, v66, v49
	;;#ASMEND
	;;#ASMSTART
	v_dot2_f32_f16 v49, v59, v67, v49
	;;#ASMEND
	;;#ASMSTART
	v_dot2_f32_f16 v49, v60, v68, v49
	;;#ASMEND
	;;#ASMSTART
	v_dot2_f32_f16 v49, v61, v69, v49
	;;#ASMEND
	;;#ASMSTART
	v_dot2_f32_f16 v52, v62, v54, v52
	;;#ASMEND
	;;#ASMSTART
	v_dot2_f32_f16 v52, v63, v55, v52
	;;#ASMEND
	;;#ASMSTART
	v_dot2_f32_f16 v52, v64, v56, v52
	;;#ASMEND
	;;#ASMSTART
	v_dot2_f32_f16 v52, v65, v57, v52
	;;#ASMEND
	;;#ASMSTART
	v_dot2_f32_f16 v50, v62, v66, v50
	;;#ASMEND
	;;#ASMSTART
	v_dot2_f32_f16 v50, v63, v67, v50
	;;#ASMEND
	;;#ASMSTART
	v_dot2_f32_f16 v50, v64, v68, v50
	;;#ASMEND
	;;#ASMSTART
	v_dot2_f32_f16 v50, v65, v69, v50
	;;#ASMEND
	ds_read_b128 v[54:57], v30 offset:528
	ds_read_b128 v[58:61], v25 offset:16400
	ds_read_b128 v[62:65], v25 offset:21008
	ds_read_b128 v[66:69], v30 offset:1552
	s_waitcnt lgkmcnt(2)
	;;#ASMSTART
	v_dot2_f32_f16 v51, v58, v54, v51
	;;#ASMEND
	;;#ASMSTART
	v_dot2_f32_f16 v51, v59, v55, v51
	;;#ASMEND
	;;#ASMSTART
	v_dot2_f32_f16 v51, v60, v56, v51
	;;#ASMEND
	;;#ASMSTART
	v_dot2_f32_f16 v51, v61, v57, v51
	;;#ASMEND
	s_waitcnt lgkmcnt(0)
	;;#ASMSTART
	v_dot2_f32_f16 v49, v58, v66, v49
	;;#ASMEND
	;;#ASMSTART
	v_dot2_f32_f16 v49, v59, v67, v49
	;;#ASMEND
	;;#ASMSTART
	v_dot2_f32_f16 v49, v60, v68, v49
	;;#ASMEND
	;;#ASMSTART
	v_dot2_f32_f16 v49, v61, v69, v49
	;;#ASMEND
	;;#ASMSTART
	v_dot2_f32_f16 v52, v62, v54, v52
	;;#ASMEND
	;;#ASMSTART
	v_dot2_f32_f16 v52, v63, v55, v52
	;;#ASMEND
	;;#ASMSTART
	v_dot2_f32_f16 v52, v64, v56, v52
	;;#ASMEND
	;;#ASMSTART
	v_dot2_f32_f16 v52, v65, v57, v52
	;;#ASMEND
	;;#ASMSTART
	v_dot2_f32_f16 v50, v62, v66, v50
	;;#ASMEND
	;;#ASMSTART
	v_dot2_f32_f16 v50, v63, v67, v50
	;;#ASMEND
	;;#ASMSTART
	v_dot2_f32_f16 v50, v64, v68, v50
	;;#ASMEND
	;;#ASMSTART
	v_dot2_f32_f16 v50, v65, v69, v50
	;;#ASMEND
	;; [unrolled: 54-line block ×8, first 2 shown]
	s_barrier
	global_load_dwordx4 v[54:57], v[26:27], off offset:640
	global_load_dwordx4 v[58:61], v[28:29], off offset:640
	s_waitcnt vmcnt(1)
	ds_write_b128 v21, v[54:57]
	s_waitcnt vmcnt(0)
	ds_write_b128 v23, v[58:61]
	s_waitcnt lgkmcnt(0)
	s_barrier
	ds_read_b128 v[54:57], v30 offset:640
	ds_read_b128 v[58:61], v25 offset:16384
	ds_read_b128 v[62:65], v25 offset:20992
	ds_read_b128 v[66:69], v30 offset:1664
	s_waitcnt lgkmcnt(2)
	;;#ASMSTART
	v_dot2_f32_f16 v51, v58, v54, v51
	;;#ASMEND
	;;#ASMSTART
	v_dot2_f32_f16 v51, v59, v55, v51
	;;#ASMEND
	;;#ASMSTART
	v_dot2_f32_f16 v51, v60, v56, v51
	;;#ASMEND
	;;#ASMSTART
	v_dot2_f32_f16 v51, v61, v57, v51
	;;#ASMEND
	s_waitcnt lgkmcnt(0)
	;;#ASMSTART
	v_dot2_f32_f16 v49, v58, v66, v49
	;;#ASMEND
	;;#ASMSTART
	v_dot2_f32_f16 v49, v59, v67, v49
	;;#ASMEND
	;;#ASMSTART
	v_dot2_f32_f16 v49, v60, v68, v49
	;;#ASMEND
	;;#ASMSTART
	v_dot2_f32_f16 v49, v61, v69, v49
	;;#ASMEND
	;;#ASMSTART
	v_dot2_f32_f16 v52, v62, v54, v52
	;;#ASMEND
	;;#ASMSTART
	v_dot2_f32_f16 v52, v63, v55, v52
	;;#ASMEND
	;;#ASMSTART
	v_dot2_f32_f16 v52, v64, v56, v52
	;;#ASMEND
	;;#ASMSTART
	v_dot2_f32_f16 v52, v65, v57, v52
	;;#ASMEND
	;;#ASMSTART
	v_dot2_f32_f16 v50, v62, v66, v50
	;;#ASMEND
	;;#ASMSTART
	v_dot2_f32_f16 v50, v63, v67, v50
	;;#ASMEND
	;;#ASMSTART
	v_dot2_f32_f16 v50, v64, v68, v50
	;;#ASMEND
	;;#ASMSTART
	v_dot2_f32_f16 v50, v65, v69, v50
	;;#ASMEND
	ds_read_b128 v[54:57], v30 offset:656
	ds_read_b128 v[58:61], v25 offset:16400
	ds_read_b128 v[62:65], v25 offset:21008
	ds_read_b128 v[66:69], v30 offset:1680
	s_waitcnt lgkmcnt(2)
	;;#ASMSTART
	v_dot2_f32_f16 v51, v58, v54, v51
	;;#ASMEND
	;;#ASMSTART
	v_dot2_f32_f16 v51, v59, v55, v51
	;;#ASMEND
	;;#ASMSTART
	v_dot2_f32_f16 v51, v60, v56, v51
	;;#ASMEND
	;;#ASMSTART
	v_dot2_f32_f16 v51, v61, v57, v51
	;;#ASMEND
	s_waitcnt lgkmcnt(0)
	;;#ASMSTART
	v_dot2_f32_f16 v49, v58, v66, v49
	;;#ASMEND
	;;#ASMSTART
	v_dot2_f32_f16 v49, v59, v67, v49
	;;#ASMEND
	;;#ASMSTART
	v_dot2_f32_f16 v49, v60, v68, v49
	;;#ASMEND
	;;#ASMSTART
	v_dot2_f32_f16 v49, v61, v69, v49
	;;#ASMEND
	;;#ASMSTART
	v_dot2_f32_f16 v52, v62, v54, v52
	;;#ASMEND
	;;#ASMSTART
	v_dot2_f32_f16 v52, v63, v55, v52
	;;#ASMEND
	;;#ASMSTART
	v_dot2_f32_f16 v52, v64, v56, v52
	;;#ASMEND
	;;#ASMSTART
	v_dot2_f32_f16 v52, v65, v57, v52
	;;#ASMEND
	;;#ASMSTART
	v_dot2_f32_f16 v50, v62, v66, v50
	;;#ASMEND
	;;#ASMSTART
	v_dot2_f32_f16 v50, v63, v67, v50
	;;#ASMEND
	;;#ASMSTART
	v_dot2_f32_f16 v50, v64, v68, v50
	;;#ASMEND
	;;#ASMSTART
	v_dot2_f32_f16 v50, v65, v69, v50
	;;#ASMEND
	;; [unrolled: 54-line block ×8, first 2 shown]
	s_barrier
	global_load_dwordx4 v[54:57], v[26:27], off offset:768
	global_load_dwordx4 v[58:61], v[28:29], off offset:768
	s_waitcnt vmcnt(1)
	ds_write_b128 v21, v[54:57]
	s_waitcnt vmcnt(0)
	ds_write_b128 v23, v[58:61]
	s_waitcnt lgkmcnt(0)
	s_barrier
	ds_read_b128 v[54:57], v30 offset:768
	ds_read_b128 v[58:61], v25 offset:16384
	ds_read_b128 v[62:65], v25 offset:20992
	ds_read_b128 v[66:69], v30 offset:1792
	s_waitcnt lgkmcnt(2)
	;;#ASMSTART
	v_dot2_f32_f16 v51, v58, v54, v51
	;;#ASMEND
	;;#ASMSTART
	v_dot2_f32_f16 v51, v59, v55, v51
	;;#ASMEND
	;;#ASMSTART
	v_dot2_f32_f16 v51, v60, v56, v51
	;;#ASMEND
	;;#ASMSTART
	v_dot2_f32_f16 v51, v61, v57, v51
	;;#ASMEND
	s_waitcnt lgkmcnt(0)
	;;#ASMSTART
	v_dot2_f32_f16 v49, v58, v66, v49
	;;#ASMEND
	;;#ASMSTART
	v_dot2_f32_f16 v49, v59, v67, v49
	;;#ASMEND
	;;#ASMSTART
	v_dot2_f32_f16 v49, v60, v68, v49
	;;#ASMEND
	;;#ASMSTART
	v_dot2_f32_f16 v49, v61, v69, v49
	;;#ASMEND
	;;#ASMSTART
	v_dot2_f32_f16 v52, v62, v54, v52
	;;#ASMEND
	;;#ASMSTART
	v_dot2_f32_f16 v52, v63, v55, v52
	;;#ASMEND
	;;#ASMSTART
	v_dot2_f32_f16 v52, v64, v56, v52
	;;#ASMEND
	;;#ASMSTART
	v_dot2_f32_f16 v52, v65, v57, v52
	;;#ASMEND
	;;#ASMSTART
	v_dot2_f32_f16 v50, v62, v66, v50
	;;#ASMEND
	;;#ASMSTART
	v_dot2_f32_f16 v50, v63, v67, v50
	;;#ASMEND
	;;#ASMSTART
	v_dot2_f32_f16 v50, v64, v68, v50
	;;#ASMEND
	;;#ASMSTART
	v_dot2_f32_f16 v50, v65, v69, v50
	;;#ASMEND
	ds_read_b128 v[54:57], v30 offset:784
	ds_read_b128 v[58:61], v25 offset:16400
	ds_read_b128 v[62:65], v25 offset:21008
	ds_read_b128 v[66:69], v30 offset:1808
	s_waitcnt lgkmcnt(2)
	;;#ASMSTART
	v_dot2_f32_f16 v51, v58, v54, v51
	;;#ASMEND
	;;#ASMSTART
	v_dot2_f32_f16 v51, v59, v55, v51
	;;#ASMEND
	;;#ASMSTART
	v_dot2_f32_f16 v51, v60, v56, v51
	;;#ASMEND
	;;#ASMSTART
	v_dot2_f32_f16 v51, v61, v57, v51
	;;#ASMEND
	s_waitcnt lgkmcnt(0)
	;;#ASMSTART
	v_dot2_f32_f16 v49, v58, v66, v49
	;;#ASMEND
	;;#ASMSTART
	v_dot2_f32_f16 v49, v59, v67, v49
	;;#ASMEND
	;;#ASMSTART
	v_dot2_f32_f16 v49, v60, v68, v49
	;;#ASMEND
	;;#ASMSTART
	v_dot2_f32_f16 v49, v61, v69, v49
	;;#ASMEND
	;;#ASMSTART
	v_dot2_f32_f16 v52, v62, v54, v52
	;;#ASMEND
	;;#ASMSTART
	v_dot2_f32_f16 v52, v63, v55, v52
	;;#ASMEND
	;;#ASMSTART
	v_dot2_f32_f16 v52, v64, v56, v52
	;;#ASMEND
	;;#ASMSTART
	v_dot2_f32_f16 v52, v65, v57, v52
	;;#ASMEND
	;;#ASMSTART
	v_dot2_f32_f16 v50, v62, v66, v50
	;;#ASMEND
	;;#ASMSTART
	v_dot2_f32_f16 v50, v63, v67, v50
	;;#ASMEND
	;;#ASMSTART
	v_dot2_f32_f16 v50, v64, v68, v50
	;;#ASMEND
	;;#ASMSTART
	v_dot2_f32_f16 v50, v65, v69, v50
	;;#ASMEND
	;; [unrolled: 54-line block ×8, first 2 shown]
	s_barrier
	global_load_dwordx4 v[54:57], v[26:27], off offset:896
	global_load_dwordx4 v[58:61], v[28:29], off offset:896
	s_waitcnt vmcnt(1)
	ds_write_b128 v21, v[54:57]
	s_waitcnt vmcnt(0)
	ds_write_b128 v23, v[58:61]
	s_waitcnt lgkmcnt(0)
	s_barrier
	ds_read_b128 v[26:29], v30 offset:896
	ds_read_b128 v[54:57], v25 offset:16384
	ds_read_b128 v[58:61], v25 offset:20992
	ds_read_b128 v[62:65], v30 offset:1920
	s_waitcnt lgkmcnt(2)
	;;#ASMSTART
	v_dot2_f32_f16 v51, v54, v26, v51
	;;#ASMEND
	;;#ASMSTART
	v_dot2_f32_f16 v51, v55, v27, v51
	;;#ASMEND
	;;#ASMSTART
	v_dot2_f32_f16 v51, v56, v28, v51
	;;#ASMEND
	;;#ASMSTART
	v_dot2_f32_f16 v51, v57, v29, v51
	;;#ASMEND
	s_waitcnt lgkmcnt(0)
	;;#ASMSTART
	v_dot2_f32_f16 v49, v54, v62, v49
	;;#ASMEND
	;;#ASMSTART
	v_dot2_f32_f16 v49, v55, v63, v49
	;;#ASMEND
	;;#ASMSTART
	v_dot2_f32_f16 v49, v56, v64, v49
	;;#ASMEND
	;;#ASMSTART
	v_dot2_f32_f16 v49, v57, v65, v49
	;;#ASMEND
	;;#ASMSTART
	v_dot2_f32_f16 v52, v58, v26, v52
	;;#ASMEND
	;;#ASMSTART
	v_dot2_f32_f16 v52, v59, v27, v52
	;;#ASMEND
	;;#ASMSTART
	v_dot2_f32_f16 v52, v60, v28, v52
	;;#ASMEND
	;;#ASMSTART
	v_dot2_f32_f16 v52, v61, v29, v52
	;;#ASMEND
	;;#ASMSTART
	v_dot2_f32_f16 v50, v58, v62, v50
	;;#ASMEND
	;;#ASMSTART
	v_dot2_f32_f16 v50, v59, v63, v50
	;;#ASMEND
	;;#ASMSTART
	v_dot2_f32_f16 v50, v60, v64, v50
	;;#ASMEND
	;;#ASMSTART
	v_dot2_f32_f16 v50, v61, v65, v50
	;;#ASMEND
	ds_read_b128 v[26:29], v30 offset:912
	ds_read_b128 v[54:57], v25 offset:16400
	ds_read_b128 v[58:61], v25 offset:21008
	ds_read_b128 v[62:65], v30 offset:1936
	s_waitcnt lgkmcnt(2)
	;;#ASMSTART
	v_dot2_f32_f16 v51, v54, v26, v51
	;;#ASMEND
	;;#ASMSTART
	v_dot2_f32_f16 v51, v55, v27, v51
	;;#ASMEND
	;;#ASMSTART
	v_dot2_f32_f16 v51, v56, v28, v51
	;;#ASMEND
	;;#ASMSTART
	v_dot2_f32_f16 v51, v57, v29, v51
	;;#ASMEND
	s_waitcnt lgkmcnt(0)
	;;#ASMSTART
	v_dot2_f32_f16 v49, v54, v62, v49
	;;#ASMEND
	;;#ASMSTART
	v_dot2_f32_f16 v49, v55, v63, v49
	;;#ASMEND
	;;#ASMSTART
	v_dot2_f32_f16 v49, v56, v64, v49
	;;#ASMEND
	;;#ASMSTART
	v_dot2_f32_f16 v49, v57, v65, v49
	;;#ASMEND
	;;#ASMSTART
	v_dot2_f32_f16 v52, v58, v26, v52
	;;#ASMEND
	;;#ASMSTART
	v_dot2_f32_f16 v52, v59, v27, v52
	;;#ASMEND
	;;#ASMSTART
	v_dot2_f32_f16 v52, v60, v28, v52
	;;#ASMEND
	;;#ASMSTART
	v_dot2_f32_f16 v52, v61, v29, v52
	;;#ASMEND
	;;#ASMSTART
	v_dot2_f32_f16 v50, v58, v62, v50
	;;#ASMEND
	;;#ASMSTART
	v_dot2_f32_f16 v50, v59, v63, v50
	;;#ASMEND
	;;#ASMSTART
	v_dot2_f32_f16 v50, v60, v64, v50
	;;#ASMEND
	;;#ASMSTART
	v_dot2_f32_f16 v50, v61, v65, v50
	;;#ASMEND
	;; [unrolled: 54-line block ×7, first 2 shown]
	ds_read_b128 v[26:29], v30 offset:1008
	ds_read_b128 v[54:57], v25 offset:16496
	;; [unrolled: 1-line block ×4, first 2 shown]
	s_waitcnt lgkmcnt(2)
	;;#ASMSTART
	v_dot2_f32_f16 v51, v54, v26, v51
	;;#ASMEND
	;;#ASMSTART
	v_dot2_f32_f16 v51, v55, v27, v51
	;;#ASMEND
	;; [unrolled: 3-line block ×4, first 2 shown]
	s_waitcnt lgkmcnt(0)
	;;#ASMSTART
	v_dot2_f32_f16 v49, v54, v62, v49
	;;#ASMEND
	;;#ASMSTART
	v_dot2_f32_f16 v49, v55, v63, v49
	;;#ASMEND
	;; [unrolled: 3-line block ×11, first 2 shown]
	v_cmp_nlt_f32_e64 s[10:11], |v51|, s12
	;;#ASMSTART
	v_dot2_f32_f16 v50, v61, v65, v50
	;;#ASMEND
                                        ; implicit-def: $vgpr28
	s_and_saveexec_b64 s[34:35], s[10:11]
	s_xor_b64 s[10:11], exec, s[34:35]
	s_cbranch_execz .LBB30_12
; %bb.11:                               ;   in Loop: Header=BB30_10 Depth=1
	v_add_f32_e64 v26, |v51|, |v51|
	v_mul_f32_e32 v27, 0x3fb8aa3b, v26
	v_rndne_f32_e32 v28, v27
	v_sub_f32_e32 v29, v27, v28
	v_fma_f32 v27, v26, s13, -v27
	v_fmac_f32_e32 v27, 0x32a5705f, v26
	v_add_f32_e32 v27, v29, v27
	v_cvt_i32_f32_e32 v28, v28
	v_exp_f32_e32 v27, v27
	v_cmp_ngt_f32_e32 vcc, s24, v26
	v_ldexp_f32 v27, v27, v28
	v_cndmask_b32_e32 v27, 0, v27, vcc
	v_cmp_nlt_f32_e32 vcc, s25, v26
	v_cndmask_b32_e32 v26, v41, v27, vcc
	v_add_f32_e32 v26, 1.0, v26
	v_rcp_f32_e32 v26, v26
	v_fma_f32 v28, v26, -2.0, 1.0
.LBB30_12:                              ;   in Loop: Header=BB30_10 Depth=1
	s_andn2_saveexec_b64 s[10:11], s[10:11]
; %bb.13:                               ;   in Loop: Header=BB30_10 Depth=1
	v_mul_f32_e32 v26, v51, v51
	v_mov_b32_e32 v27, 0x3ca908c9
	v_fmac_f32_e32 v27, 0xbbbac73d, v26
	v_fma_f32 v27, v26, v27, v38
	v_fma_f32 v27, v26, v27, v39
	;; [unrolled: 1-line block ×3, first 2 shown]
	v_mul_f32_e64 v27, |v51|, v27
	v_fma_f32 v28, v26, v27, |v51|
; %bb.14:                               ;   in Loop: Header=BB30_10 Depth=1
	s_or_b64 exec, exec, s[10:11]
	v_add_u32_e32 v26, s6, v10
	v_ashrrev_i32_e32 v27, 31, v26
	v_lshlrev_b64 v[26:27], 1, v[26:27]
	v_mov_b32_e32 v29, s31
	v_add_co_u32_e32 v26, vcc, s30, v26
	v_addc_co_u32_e32 v27, vcc, v29, v27, vcc
	flat_load_ushort v55, v[26:27]
	v_cmp_nlt_f32_e64 s[10:11], |v52|, s12
                                        ; implicit-def: $vgpr29
	s_and_saveexec_b64 s[34:35], s[10:11]
	s_xor_b64 s[10:11], exec, s[34:35]
	s_cbranch_execz .LBB30_16
; %bb.15:                               ;   in Loop: Header=BB30_10 Depth=1
	v_add_f32_e64 v29, |v52|, |v52|
	v_mul_f32_e32 v53, 0x3fb8aa3b, v29
	v_rndne_f32_e32 v54, v53
	v_sub_f32_e32 v56, v53, v54
	v_fma_f32 v53, v29, s13, -v53
	v_fmac_f32_e32 v53, 0x32a5705f, v29
	v_add_f32_e32 v53, v56, v53
	v_cvt_i32_f32_e32 v54, v54
	v_exp_f32_e32 v53, v53
	v_cmp_ngt_f32_e32 vcc, s24, v29
	v_ldexp_f32 v53, v53, v54
	v_cndmask_b32_e32 v53, 0, v53, vcc
	v_cmp_nlt_f32_e32 vcc, s25, v29
	v_cndmask_b32_e32 v29, v41, v53, vcc
	v_add_f32_e32 v29, 1.0, v29
	v_rcp_f32_e32 v29, v29
	v_fma_f32 v29, v29, -2.0, 1.0
.LBB30_16:                              ;   in Loop: Header=BB30_10 Depth=1
	s_andn2_saveexec_b64 s[10:11], s[10:11]
; %bb.17:                               ;   in Loop: Header=BB30_10 Depth=1
	v_mul_f32_e32 v29, v52, v52
	v_mov_b32_e32 v53, 0x3ca908c9
	v_fmac_f32_e32 v53, 0xbbbac73d, v29
	v_fma_f32 v53, v29, v53, v38
	v_fma_f32 v53, v29, v53, v39
	v_fma_f32 v53, v29, v53, v40
	v_mul_f32_e64 v53, |v52|, v53
	v_fma_f32 v29, v29, v53, |v52|
; %bb.18:                               ;   in Loop: Header=BB30_10 Depth=1
	s_or_b64 exec, exec, s[10:11]
	flat_load_ushort v59, v[26:27] offset:64
	v_and_b32_e32 v27, 0x60, v11
	v_bfi_b32 v26, s26, v28, v51
	v_add_u32_e32 v28, 32, v27
	v_xor_b32_e32 v54, 16, v11
	v_cmp_lt_i32_e32 vcc, v54, v28
	v_cndmask_b32_e32 v27, v11, v54, vcc
	v_lshlrev_b32_e32 v56, 2, v27
	v_bfi_b32 v27, s26, v29, v52
	s_waitcnt vmcnt(0) lgkmcnt(0)
	v_fma_mix_f32 v26, v26, s0, v55 op_sel_hi:[0,0,1]
	v_add_f32_e32 v51, 0x40051340, v26
	v_cmp_nlt_f32_e64 s[10:11], |v49|, s12
                                        ; implicit-def: $vgpr64
	v_fma_mix_f32 v27, v27, s0, v59 op_sel_hi:[0,0,1]
	v_add_f32_e32 v29, 0x40051340, v27
	v_max3_f32 v51, v6, v51, v29
	ds_bpermute_b32 v52, v56, v51
	v_xor_b32_e32 v29, 8, v11
	v_cmp_lt_i32_e32 vcc, v29, v28
	v_cndmask_b32_e32 v53, v11, v29, vcc
	v_lshlrev_b32_e32 v57, 2, v53
	s_waitcnt lgkmcnt(0)
	v_max_f32_e32 v52, v52, v52
	v_max_f32_e32 v52, v51, v52
	ds_bpermute_b32 v53, v57, v52
	v_xor_b32_e32 v51, 4, v11
	v_cmp_lt_i32_e32 vcc, v51, v28
	v_cndmask_b32_e32 v58, v11, v51, vcc
	v_lshlrev_b32_e32 v58, 2, v58
	s_waitcnt lgkmcnt(0)
	v_max_f32_e32 v53, v53, v53
	v_max_f32_e32 v53, v52, v53
	;; [unrolled: 8-line block ×4, first 2 shown]
	ds_bpermute_b32 v62, v63, v60
	s_and_saveexec_b64 s[34:35], s[10:11]
	s_xor_b64 s[10:11], exec, s[34:35]
	s_cbranch_execz .LBB30_20
; %bb.19:                               ;   in Loop: Header=BB30_10 Depth=1
	v_add_f32_e64 v64, |v49|, |v49|
	v_mul_f32_e32 v65, 0x3fb8aa3b, v64
	v_rndne_f32_e32 v66, v65
	v_sub_f32_e32 v67, v65, v66
	v_fma_f32 v65, v64, s13, -v65
	v_fmac_f32_e32 v65, 0x32a5705f, v64
	v_add_f32_e32 v65, v67, v65
	v_cvt_i32_f32_e32 v66, v66
	v_exp_f32_e32 v65, v65
	v_cmp_ngt_f32_e32 vcc, s24, v64
	v_ldexp_f32 v65, v65, v66
	v_cndmask_b32_e32 v65, 0, v65, vcc
	v_cmp_nlt_f32_e32 vcc, s25, v64
	v_cndmask_b32_e32 v64, v41, v65, vcc
	v_add_f32_e32 v64, 1.0, v64
	v_rcp_f32_e32 v64, v64
	v_fma_f32 v64, v64, -2.0, 1.0
.LBB30_20:                              ;   in Loop: Header=BB30_10 Depth=1
	s_andn2_saveexec_b64 s[10:11], s[10:11]
; %bb.21:                               ;   in Loop: Header=BB30_10 Depth=1
	v_mul_f32_e32 v64, v49, v49
	v_mov_b32_e32 v65, 0x3ca908c9
	v_fmac_f32_e32 v65, 0xbbbac73d, v64
	v_fma_f32 v65, v64, v65, v38
	v_fma_f32 v65, v64, v65, v39
	;; [unrolled: 1-line block ×3, first 2 shown]
	v_mul_f32_e64 v65, |v49|, v65
	v_fma_f32 v64, v64, v65, |v49|
; %bb.22:                               ;   in Loop: Header=BB30_10 Depth=1
	s_or_b64 exec, exec, s[10:11]
	v_cmp_nlt_f32_e64 s[10:11], |v50|, s12
                                        ; implicit-def: $vgpr65
	s_and_saveexec_b64 s[34:35], s[10:11]
	s_xor_b64 s[10:11], exec, s[34:35]
	s_cbranch_execz .LBB30_24
; %bb.23:                               ;   in Loop: Header=BB30_10 Depth=1
	v_add_f32_e64 v65, |v50|, |v50|
	v_mul_f32_e32 v66, 0x3fb8aa3b, v65
	v_rndne_f32_e32 v67, v66
	v_sub_f32_e32 v68, v66, v67
	v_fma_f32 v66, v65, s13, -v66
	v_fmac_f32_e32 v66, 0x32a5705f, v65
	v_add_f32_e32 v66, v68, v66
	v_cvt_i32_f32_e32 v67, v67
	v_exp_f32_e32 v66, v66
	v_cmp_ngt_f32_e32 vcc, s24, v65
	v_ldexp_f32 v66, v66, v67
	v_cndmask_b32_e32 v66, 0, v66, vcc
	v_cmp_nlt_f32_e32 vcc, s25, v65
	v_cndmask_b32_e32 v65, v41, v66, vcc
	v_add_f32_e32 v65, 1.0, v65
	v_rcp_f32_e32 v65, v65
	v_fma_f32 v65, v65, -2.0, 1.0
.LBB30_24:                              ;   in Loop: Header=BB30_10 Depth=1
	s_andn2_saveexec_b64 s[10:11], s[10:11]
	s_cbranch_execz .LBB30_9
; %bb.25:                               ;   in Loop: Header=BB30_10 Depth=1
	v_mul_f32_e32 v65, v50, v50
	v_mov_b32_e32 v66, 0x3ca908c9
	v_fmac_f32_e32 v66, 0xbbbac73d, v65
	v_fma_f32 v66, v65, v66, v38
	v_fma_f32 v66, v65, v66, v39
	;; [unrolled: 1-line block ×3, first 2 shown]
	v_mul_f32_e64 v66, |v50|, v66
	v_fma_f32 v65, v65, v66, |v50|
	s_branch .LBB30_9
.LBB30_26:
	v_cmp_lt_i32_e32 vcc, v54, v28
	v_cndmask_b32_e32 v10, v11, v54, vcc
	v_lshlrev_b32_e32 v10, 2, v10
	ds_bpermute_b32 v12, v10, v8
	ds_bpermute_b32 v13, v10, v9
	v_cmp_lt_i32_e32 vcc, v29, v28
	v_cndmask_b32_e32 v10, v11, v29, vcc
	v_lshlrev_b32_e32 v10, 2, v10
	v_cmp_lt_i32_e32 vcc, v51, v28
	s_waitcnt lgkmcnt(0)
	v_pk_add_f32 v[8:9], v[8:9], v[12:13]
	ds_bpermute_b32 v12, v10, v8
	ds_bpermute_b32 v13, v10, v9
	v_cndmask_b32_e32 v10, v11, v51, vcc
	v_lshlrev_b32_e32 v10, 2, v10
	v_cmp_lt_i32_e32 vcc, v52, v28
	s_cmp_lg_u64 s[16:17], 0
	s_waitcnt lgkmcnt(0)
	v_pk_add_f32 v[8:9], v[8:9], v[12:13]
	ds_bpermute_b32 v12, v10, v8
	ds_bpermute_b32 v13, v10, v9
	v_cndmask_b32_e32 v10, v11, v52, vcc
	v_lshlrev_b32_e32 v10, 2, v10
	v_cmp_lt_i32_e32 vcc, v53, v28
	s_cselect_b64 s[0:1], -1, 0
	s_waitcnt lgkmcnt(0)
	v_pk_add_f32 v[8:9], v[8:9], v[12:13]
	ds_bpermute_b32 v12, v10, v8
	ds_bpermute_b32 v13, v10, v9
	v_cndmask_b32_e32 v10, v11, v53, vcc
	v_lshlrev_b32_e32 v11, 2, v10
	s_cmp_eq_u32 s7, 0
	s_cselect_b64 s[8:9], -1, 0
	s_waitcnt lgkmcnt(0)
	v_pk_add_f32 v[8:9], v[8:9], v[12:13]
	ds_bpermute_b32 v10, v11, v8
	ds_bpermute_b32 v11, v11, v9
	s_and_b64 s[0:1], s[8:9], s[0:1]
	s_and_b64 vcc, exec, s[0:1]
	s_waitcnt lgkmcnt(0)
	v_pk_add_f32 v[8:9], v[8:9], v[10:11]
	s_cbranch_vccz .LBB30_28
; %bb.27:
	v_add_u32_e32 v10, s29, v17
	v_ashrrev_i32_e32 v11, 31, v10
	v_lshlrev_b64 v[10:11], 2, v[10:11]
	v_mov_b32_e32 v12, s17
	v_add_co_u32_e32 v10, vcc, s16, v10
	v_addc_co_u32_e32 v11, vcc, v12, v11, vcc
	global_load_dwordx2 v[10:11], v[10:11], off
	v_max_f32_e32 v12, v7, v7
	v_max_f32_e32 v14, v6, v6
	s_mov_b32 s0, 0x3fb8aa3b
	s_mov_b32 s1, 0xc2ce8ed0
	;; [unrolled: 1-line block ×3, first 2 shown]
	v_mov_b32_e32 v15, 0x7f800000
	s_waitcnt vmcnt(0)
	v_max_f32_e32 v13, v11, v11
	v_max_f32_e32 v21, v10, v10
	;; [unrolled: 1-line block ×4, first 2 shown]
	v_pk_add_f32 v[6:7], v[6:7], v[12:13] neg_lo:[0,1] neg_hi:[0,1]
	v_mul_f32_e32 v14, 0x3fb8aa3b, v7
	v_pk_add_f32 v[10:11], v[10:11], v[12:13] neg_lo:[0,1] neg_hi:[0,1]
	v_mul_f32_e32 v21, 0x3fb8aa3b, v6
	v_fma_f32 v26, v7, s0, -v14
	v_rndne_f32_e32 v27, v14
	v_mul_f32_e32 v23, 0x3fb8aa3b, v11
	v_fma_f32 v28, v6, s0, -v21
	v_rndne_f32_e32 v29, v21
	v_fmac_f32_e32 v26, 0x32a5705f, v7
	v_sub_f32_e32 v14, v14, v27
	v_mul_f32_e32 v25, 0x3fb8aa3b, v10
	v_fma_f32 v30, v11, s0, -v23
	v_rndne_f32_e32 v31, v23
	v_fmac_f32_e32 v28, 0x32a5705f, v6
	v_sub_f32_e32 v21, v21, v29
	v_add_f32_e32 v14, v14, v26
	v_fma_f32 v32, v10, s0, -v25
	v_rndne_f32_e32 v33, v25
	v_cvt_i32_f32_e32 v27, v27
	v_fmac_f32_e32 v30, 0x32a5705f, v11
	v_sub_f32_e32 v23, v23, v31
	v_add_f32_e32 v21, v21, v28
	v_exp_f32_e32 v14, v14
	v_cvt_i32_f32_e32 v29, v29
	v_fmac_f32_e32 v32, 0x32a5705f, v10
	v_sub_f32_e32 v25, v25, v33
	v_add_f32_e32 v23, v23, v30
	v_exp_f32_e32 v21, v21
	v_cvt_i32_f32_e32 v31, v31
	v_add_f32_e32 v25, v25, v32
	v_exp_f32_e32 v23, v23
	v_cvt_i32_f32_e32 v33, v33
	v_exp_f32_e32 v25, v25
	v_ldexp_f32 v14, v14, v27
	v_cmp_ngt_f32_e32 vcc, s1, v7
	v_ldexp_f32 v21, v21, v29
	v_cndmask_b32_e32 v14, 0, v14, vcc
	v_cmp_ngt_f32_e32 vcc, s1, v6
	v_ldexp_f32 v23, v23, v31
	v_cndmask_b32_e32 v21, 0, v21, vcc
	;; [unrolled: 3-line block ×3, first 2 shown]
	v_cmp_ngt_f32_e32 vcc, s1, v10
	v_cndmask_b32_e32 v25, 0, v25, vcc
	v_cmp_nlt_f32_e32 vcc, s6, v7
	v_cndmask_b32_e32 v7, v15, v14, vcc
	v_cmp_nlt_f32_e32 vcc, s6, v6
	;; [unrolled: 2-line block ×4, first 2 shown]
	v_cndmask_b32_e32 v10, v15, v25, vcc
	v_cvt_f16_f32_e32 v14, v6
	v_pk_fma_f32 v[8:9], v[8:9], v[6:7], v[10:11]
	v_cvt_f16_f32_e32 v6, v7
	v_pk_mul_f16 v47, v14, v47 op_sel_hi:[0,1]
	v_pk_mul_f16 v22, v14, v22 op_sel_hi:[0,1]
	;; [unrolled: 1-line block ×16, first 2 shown]
	v_pk_mov_b32 v[6:7], v[12:13], v[12:13] op_sel:[0,1]
.LBB30_28:
	v_cmp_gt_i32_e32 vcc, s2, v5
	s_and_saveexec_b64 s[0:1], vcc
	s_cbranch_execz .LBB30_37
; %bb.29:
	s_load_dword s6, s[4:5], 0xd4
	v_mov_b32_e32 v10, 1.0
	s_waitcnt lgkmcnt(0)
	s_cmp_lg_u32 s6, 1
	s_cselect_b64 s[0:1], -1, 0
	s_cmp_eq_u32 s6, 1
	s_cselect_b64 s[4:5], -1, 0
	s_and_b64 vcc, exec, s[0:1]
	s_cbranch_vccnz .LBB30_31
; %bb.30:
	v_div_scale_f32 v10, s[8:9], v8, v8, 1.0
	v_rcp_f32_e32 v11, v10
	v_div_scale_f32 v12, vcc, 1.0, v8, 1.0
	v_fma_f32 v13, -v10, v11, 1.0
	v_fmac_f32_e32 v11, v13, v11
	v_mul_f32_e32 v13, v12, v11
	v_fma_f32 v14, -v10, v13, v12
	v_fmac_f32_e32 v13, v14, v11
	v_fma_f32 v10, -v10, v13, v12
	v_div_fmas_f32 v10, v10, v11, v13
	v_div_fixup_f32 v10, v10, v8, 1.0
.LBB30_31:
	s_mul_i32 s33, s33, s2
	v_add_u32_e32 v5, s33, v5
	v_mul_lo_u32 v5, v5, s3
	v_add3_u32 v5, s29, v17, v5
	v_cmp_eq_u32_e32 vcc, 0, v4
	v_mul_lo_u32 v4, s6, v5
	v_add_u32_e32 v4, s7, v4
	v_cvt_f32_f16_sdwa v15, v47 dst_sel:DWORD dst_unused:UNUSED_PAD src0_sel:WORD_1
	v_cvt_f32_f16_e32 v14, v47
	v_cvt_f32_f16_sdwa v23, v22 dst_sel:DWORD dst_unused:UNUSED_PAD src0_sel:WORD_1
	v_cvt_f32_f16_e32 v22, v22
	v_lshl_add_u32 v26, v4, 9, v19
	v_mov_b32_e32 v27, 0
	v_lshlrev_b64 v[12:13], 2, v[26:27]
	s_and_b64 s[0:1], vcc, s[0:1]
	v_mov_b32_e32 v5, s21
	v_add_co_u32_e32 v28, vcc, s20, v12
	v_addc_co_u32_e32 v29, vcc, v5, v13, vcc
	v_pk_mul_f32 v[12:13], v[10:11], v[14:15] op_sel_hi:[0,1]
	v_pk_mul_f32 v[14:15], v[10:11], v[22:23] op_sel_hi:[0,1]
	global_store_dwordx4 v[28:29], v[12:15], off
	v_cvt_f32_f16_sdwa v23, v24 dst_sel:DWORD dst_unused:UNUSED_PAD src0_sel:WORD_1
	v_cvt_f32_f16_sdwa v15, v48 dst_sel:DWORD dst_unused:UNUSED_PAD src0_sel:WORD_1
	v_cvt_f32_f16_e32 v14, v48
	v_cvt_f32_f16_e32 v22, v24
	v_add_u32_e32 v12, 0x80, v26
	v_mov_b32_e32 v13, v27
	v_lshlrev_b64 v[12:13], 2, v[12:13]
	v_add_co_u32_e32 v24, vcc, s20, v12
	v_addc_co_u32_e32 v25, vcc, v5, v13, vcc
	v_pk_mul_f32 v[12:13], v[10:11], v[14:15] op_sel_hi:[0,1]
	v_pk_mul_f32 v[14:15], v[10:11], v[22:23] op_sel_hi:[0,1]
	global_store_dwordx4 v[24:25], v[12:15], off
	v_cvt_f32_f16_sdwa v21, v20 dst_sel:DWORD dst_unused:UNUSED_PAD src0_sel:WORD_1
	v_cvt_f32_f16_sdwa v15, v46 dst_sel:DWORD dst_unused:UNUSED_PAD src0_sel:WORD_1
	v_cvt_f32_f16_e32 v14, v46
	v_cvt_f32_f16_e32 v20, v20
	v_add_u32_e32 v12, 0x100, v26
	v_mov_b32_e32 v13, v27
	v_lshlrev_b64 v[12:13], 2, v[12:13]
	v_add_co_u32_e32 v22, vcc, s20, v12
	v_addc_co_u32_e32 v23, vcc, v5, v13, vcc
	v_pk_mul_f32 v[12:13], v[10:11], v[14:15] op_sel_hi:[0,1]
	v_pk_mul_f32 v[14:15], v[10:11], v[20:21] op_sel_hi:[0,1]
	global_store_dwordx4 v[22:23], v[12:15], off
	v_cvt_f32_f16_sdwa v21, v18 dst_sel:DWORD dst_unused:UNUSED_PAD src0_sel:WORD_1
	v_cvt_f32_f16_sdwa v15, v45 dst_sel:DWORD dst_unused:UNUSED_PAD src0_sel:WORD_1
	v_cvt_f32_f16_e32 v14, v45
	v_cvt_f32_f16_e32 v20, v18
	v_add_u32_e32 v26, 0x180, v26
	v_lshlrev_b64 v[12:13], 2, v[26:27]
	v_add_co_u32_e32 v22, vcc, s20, v12
	v_addc_co_u32_e32 v23, vcc, v5, v13, vcc
	v_pk_mul_f32 v[12:13], v[10:11], v[14:15] op_sel_hi:[0,1]
	v_pk_mul_f32 v[14:15], v[10:11], v[20:21] op_sel_hi:[0,1]
	global_store_dwordx4 v[22:23], v[12:15], off
	s_and_saveexec_b64 s[2:3], s[0:1]
	s_cbranch_execz .LBB30_33
; %bb.32:
	v_ashrrev_i32_e32 v5, 31, v4
	v_lshlrev_b64 v[10:11], 3, v[4:5]
	v_mov_b32_e32 v5, s23
	v_add_co_u32_e32 v10, vcc, s22, v10
	v_addc_co_u32_e32 v11, vcc, v5, v11, vcc
	v_mov_b32_e32 v12, v6
	v_mov_b32_e32 v13, v8
	global_store_dwordx2 v[10:11], v[12:13], off
.LBB30_33:
	s_or_b64 exec, exec, s[2:3]
	s_andn2_b64 vcc, exec, s[4:5]
	v_mov_b32_e32 v6, 1.0
	s_cbranch_vccnz .LBB30_35
; %bb.34:
	v_div_scale_f32 v5, s[2:3], v9, v9, 1.0
	v_rcp_f32_e32 v6, v5
	v_div_scale_f32 v8, vcc, 1.0, v9, 1.0
	v_fma_f32 v10, -v5, v6, 1.0
	v_fmac_f32_e32 v6, v10, v6
	v_mul_f32_e32 v10, v8, v6
	v_fma_f32 v11, -v5, v10, v8
	v_fmac_f32_e32 v10, v11, v6
	v_fma_f32 v5, -v5, v10, v8
	v_div_fmas_f32 v5, v5, v6, v10
	v_div_fixup_f32 v6, v5, v9, 1.0
.LBB30_35:
	v_add_u32_e32 v4, s6, v4
	v_cvt_f32_f16_sdwa v13, v44 dst_sel:DWORD dst_unused:UNUSED_PAD src0_sel:WORD_1
	v_cvt_f32_f16_e32 v12, v44
	v_cvt_f32_f16_sdwa v17, v16 dst_sel:DWORD dst_unused:UNUSED_PAD src0_sel:WORD_1
	v_cvt_f32_f16_e32 v16, v16
	v_lshl_add_u32 v14, v4, 9, v19
	v_mov_b32_e32 v15, 0
	v_lshlrev_b64 v[10:11], 2, v[14:15]
	v_mov_b32_e32 v5, s21
	v_add_co_u32_e32 v18, vcc, s20, v10
	v_addc_co_u32_e32 v19, vcc, v5, v11, vcc
	v_pk_mul_f32 v[10:11], v[6:7], v[12:13] op_sel_hi:[0,1]
	v_pk_mul_f32 v[12:13], v[6:7], v[16:17] op_sel_hi:[0,1]
	global_store_dwordx4 v[18:19], v[10:13], off
	v_cvt_f32_f16_sdwa v17, v2 dst_sel:DWORD dst_unused:UNUSED_PAD src0_sel:WORD_1
	v_cvt_f32_f16_sdwa v13, v43 dst_sel:DWORD dst_unused:UNUSED_PAD src0_sel:WORD_1
	v_cvt_f32_f16_e32 v12, v43
	v_cvt_f32_f16_e32 v16, v2
	v_add_u32_e32 v10, 0x80, v14
	v_mov_b32_e32 v11, v15
	v_lshlrev_b64 v[10:11], 2, v[10:11]
	v_add_co_u32_e32 v18, vcc, s20, v10
	v_addc_co_u32_e32 v19, vcc, v5, v11, vcc
	v_pk_mul_f32 v[10:11], v[6:7], v[12:13] op_sel_hi:[0,1]
	v_pk_mul_f32 v[12:13], v[6:7], v[16:17] op_sel_hi:[0,1]
	global_store_dwordx4 v[18:19], v[10:13], off
	v_cvt_f32_f16_sdwa v17, v0 dst_sel:DWORD dst_unused:UNUSED_PAD src0_sel:WORD_1
	v_cvt_f32_f16_sdwa v13, v42 dst_sel:DWORD dst_unused:UNUSED_PAD src0_sel:WORD_1
	v_cvt_f32_f16_e32 v12, v42
	v_cvt_f32_f16_e32 v16, v0
	v_add_u32_e32 v10, 0x100, v14
	v_mov_b32_e32 v11, v15
	v_lshlrev_b64 v[10:11], 2, v[10:11]
	v_add_co_u32_e32 v18, vcc, s20, v10
	v_addc_co_u32_e32 v19, vcc, v5, v11, vcc
	v_pk_mul_f32 v[10:11], v[6:7], v[12:13] op_sel_hi:[0,1]
	v_pk_mul_f32 v[12:13], v[6:7], v[16:17] op_sel_hi:[0,1]
	global_store_dwordx4 v[18:19], v[10:13], off
	v_cvt_f32_f16_e32 v2, v1
	v_cvt_f32_f16_sdwa v13, v3 dst_sel:DWORD dst_unused:UNUSED_PAD src0_sel:WORD_1
	v_cvt_f32_f16_e32 v12, v3
	v_cvt_f32_f16_sdwa v3, v1 dst_sel:DWORD dst_unused:UNUSED_PAD src0_sel:WORD_1
	v_add_u32_e32 v14, 0x180, v14
	v_lshlrev_b64 v[10:11], 2, v[14:15]
	v_add_co_u32_e32 v10, vcc, s20, v10
	v_addc_co_u32_e32 v11, vcc, v5, v11, vcc
	v_pk_mul_f32 v[0:1], v[6:7], v[12:13] op_sel_hi:[0,1]
	v_pk_mul_f32 v[2:3], v[6:7], v[2:3] op_sel_hi:[0,1]
	global_store_dwordx4 v[10:11], v[0:3], off
	s_and_b64 exec, exec, s[0:1]
	s_cbranch_execz .LBB30_37
; %bb.36:
	v_ashrrev_i32_e32 v5, 31, v4
	v_lshlrev_b64 v[0:1], 3, v[4:5]
	v_mov_b32_e32 v2, s23
	v_add_co_u32_e32 v0, vcc, s22, v0
	v_addc_co_u32_e32 v1, vcc, v2, v1, vcc
	v_mov_b32_e32 v8, v7
	global_store_dwordx2 v[0:1], v[8:9], off
.LBB30_37:
	s_endpgm
	.section	.rodata,"a",@progbits
	.p2align	6, 0x0
	.amdhsa_kernel _ZL15flash_attn_tileILi512ELi512ELi4ELi4ELb1EEvPKcS1_S1_S1_S1_PKiPfP15HIP_vector_typeIfLj2EEffffjfiS5_IjLj3EEiiiiiiiiiiiliiliiiiil
		.amdhsa_group_segment_fixed_size 27648
		.amdhsa_private_segment_fixed_size 0
		.amdhsa_kernarg_size 464
		.amdhsa_user_sgpr_count 6
		.amdhsa_user_sgpr_private_segment_buffer 1
		.amdhsa_user_sgpr_dispatch_ptr 0
		.amdhsa_user_sgpr_queue_ptr 0
		.amdhsa_user_sgpr_kernarg_segment_ptr 1
		.amdhsa_user_sgpr_dispatch_id 0
		.amdhsa_user_sgpr_flat_scratch_init 0
		.amdhsa_user_sgpr_kernarg_preload_length 0
		.amdhsa_user_sgpr_kernarg_preload_offset 0
		.amdhsa_user_sgpr_private_segment_size 0
		.amdhsa_uses_dynamic_stack 0
		.amdhsa_system_sgpr_private_segment_wavefront_offset 0
		.amdhsa_system_sgpr_workgroup_id_x 1
		.amdhsa_system_sgpr_workgroup_id_y 1
		.amdhsa_system_sgpr_workgroup_id_z 1
		.amdhsa_system_sgpr_workgroup_info 0
		.amdhsa_system_vgpr_workitem_id 1
		.amdhsa_next_free_vgpr 110
		.amdhsa_next_free_sgpr 40
		.amdhsa_accum_offset 112
		.amdhsa_reserve_vcc 1
		.amdhsa_reserve_flat_scratch 0
		.amdhsa_float_round_mode_32 0
		.amdhsa_float_round_mode_16_64 0
		.amdhsa_float_denorm_mode_32 3
		.amdhsa_float_denorm_mode_16_64 3
		.amdhsa_dx10_clamp 1
		.amdhsa_ieee_mode 1
		.amdhsa_fp16_overflow 0
		.amdhsa_tg_split 0
		.amdhsa_exception_fp_ieee_invalid_op 0
		.amdhsa_exception_fp_denorm_src 0
		.amdhsa_exception_fp_ieee_div_zero 0
		.amdhsa_exception_fp_ieee_overflow 0
		.amdhsa_exception_fp_ieee_underflow 0
		.amdhsa_exception_fp_ieee_inexact 0
		.amdhsa_exception_int_div_zero 0
	.end_amdhsa_kernel
	.section	.text._ZL15flash_attn_tileILi512ELi512ELi4ELi4ELb1EEvPKcS1_S1_S1_S1_PKiPfP15HIP_vector_typeIfLj2EEffffjfiS5_IjLj3EEiiiiiiiiiiiliiliiiiil,"axG",@progbits,_ZL15flash_attn_tileILi512ELi512ELi4ELi4ELb1EEvPKcS1_S1_S1_S1_PKiPfP15HIP_vector_typeIfLj2EEffffjfiS5_IjLj3EEiiiiiiiiiiiliiliiiiil,comdat
.Lfunc_end30:
	.size	_ZL15flash_attn_tileILi512ELi512ELi4ELi4ELb1EEvPKcS1_S1_S1_S1_PKiPfP15HIP_vector_typeIfLj2EEffffjfiS5_IjLj3EEiiiiiiiiiiiliiliiiiil, .Lfunc_end30-_ZL15flash_attn_tileILi512ELi512ELi4ELi4ELb1EEvPKcS1_S1_S1_S1_PKiPfP15HIP_vector_typeIfLj2EEffffjfiS5_IjLj3EEiiiiiiiiiiiliiliiiiil
                                        ; -- End function
	.section	.AMDGPU.csdata,"",@progbits
; Kernel info:
; codeLenInByte = 27228
; NumSgprs: 44
; NumVgprs: 110
; NumAgprs: 0
; TotalNumVgprs: 110
; ScratchSize: 0
; MemoryBound: 0
; FloatMode: 240
; IeeeMode: 1
; LDSByteSize: 27648 bytes/workgroup (compile time only)
; SGPRBlocks: 5
; VGPRBlocks: 13
; NumSGPRsForWavesPerEU: 44
; NumVGPRsForWavesPerEU: 110
; AccumOffset: 112
; Occupancy: 2
; WaveLimiterHint : 1
; COMPUTE_PGM_RSRC2:SCRATCH_EN: 0
; COMPUTE_PGM_RSRC2:USER_SGPR: 6
; COMPUTE_PGM_RSRC2:TRAP_HANDLER: 0
; COMPUTE_PGM_RSRC2:TGID_X_EN: 1
; COMPUTE_PGM_RSRC2:TGID_Y_EN: 1
; COMPUTE_PGM_RSRC2:TGID_Z_EN: 1
; COMPUTE_PGM_RSRC2:TIDIG_COMP_CNT: 1
; COMPUTE_PGM_RSRC3_GFX90A:ACCUM_OFFSET: 27
; COMPUTE_PGM_RSRC3_GFX90A:TG_SPLIT: 0
	.section	.text._ZL15flash_attn_tileILi512ELi512ELi2ELi4ELb1EEvPKcS1_S1_S1_S1_PKiPfP15HIP_vector_typeIfLj2EEffffjfiS5_IjLj3EEiiiiiiiiiiiliiliiiiil,"axG",@progbits,_ZL15flash_attn_tileILi512ELi512ELi2ELi4ELb1EEvPKcS1_S1_S1_S1_PKiPfP15HIP_vector_typeIfLj2EEffffjfiS5_IjLj3EEiiiiiiiiiiiliiliiiiil,comdat
	.globl	_ZL15flash_attn_tileILi512ELi512ELi2ELi4ELb1EEvPKcS1_S1_S1_S1_PKiPfP15HIP_vector_typeIfLj2EEffffjfiS5_IjLj3EEiiiiiiiiiiiliiliiiiil ; -- Begin function _ZL15flash_attn_tileILi512ELi512ELi2ELi4ELb1EEvPKcS1_S1_S1_S1_PKiPfP15HIP_vector_typeIfLj2EEffffjfiS5_IjLj3EEiiiiiiiiiiiliiliiiiil
	.p2align	8
	.type	_ZL15flash_attn_tileILi512ELi512ELi2ELi4ELb1EEvPKcS1_S1_S1_S1_PKiPfP15HIP_vector_typeIfLj2EEffffjfiS5_IjLj3EEiiiiiiiiiiiliiliiiiil,@function
_ZL15flash_attn_tileILi512ELi512ELi2ELi4ELb1EEvPKcS1_S1_S1_S1_PKiPfP15HIP_vector_typeIfLj2EEffffjfiS5_IjLj3EEiiiiiiiiiiiliiliiiiil: ; @_ZL15flash_attn_tileILi512ELi512ELi2ELi4ELb1EEvPKcS1_S1_S1_S1_PKiPfP15HIP_vector_typeIfLj2EEffffjfiS5_IjLj3EEiiiiiiiiiiiliiliiiiil
; %bb.0:
	s_load_dwordx4 s[0:3], s[4:5], 0x5c
	s_load_dwordx2 s[28:29], s[4:5], 0x80
	s_load_dwordx2 s[34:35], s[4:5], 0xb8
	s_mov_b64 s[30:31], 0
	s_waitcnt lgkmcnt(0)
	s_ashr_i32 s9, s3, 31
	s_lshr_b32 s9, s9, 30
	s_add_i32 s9, s3, s9
	s_ashr_i32 s9, s9, 2
	v_cvt_f32_u32_e32 v1, s9
	s_sub_i32 s10, 0, s9
	v_rcp_iflag_f32_e32 v1, v1
	v_mul_f32_e32 v1, 0x4f7ffffe, v1
	v_cvt_u32_f32_e32 v1, v1
	v_readfirstlane_b32 s11, v1
	s_mul_i32 s10, s10, s11
	s_mul_hi_u32 s10, s11, s10
	s_add_i32 s11, s11, s10
	s_mul_hi_u32 s10, s8, s11
	s_mul_i32 s11, s10, s9
	s_sub_i32 s11, s8, s11
	s_add_i32 s12, s10, 1
	s_sub_i32 s13, s11, s9
	s_cmp_ge_u32 s11, s9
	s_cselect_b32 s10, s12, s10
	s_cselect_b32 s11, s13, s11
	s_add_i32 s12, s10, 1
	s_cmp_ge_u32 s11, s9
	s_cselect_b32 s33, s12, s10
	s_abs_i32 s9, s29
	v_cvt_f32_u32_e32 v1, s9
	s_lshl_b32 s8, s8, 2
	s_mul_i32 s12, s33, s3
	s_xor_b32 s10, s3, s29
	v_rcp_iflag_f32_e32 v1, v1
	s_sub_i32 s13, 0, s9
	s_sub_i32 s29, s8, s12
	s_abs_i32 s11, s3
	v_mul_f32_e32 v1, 0x4f7ffffe, v1
	v_cvt_u32_f32_e32 v1, v1
	s_ashr_i32 s10, s10, 31
	v_readfirstlane_b32 s8, v1
	s_mul_i32 s13, s13, s8
	s_mul_hi_u32 s12, s8, s13
	s_add_i32 s8, s8, s12
	s_mul_hi_u32 s8, s11, s8
	s_mul_i32 s12, s8, s9
	s_sub_i32 s11, s11, s12
	s_add_i32 s13, s8, 1
	s_sub_i32 s12, s11, s9
	s_cmp_ge_u32 s11, s9
	s_cselect_b32 s8, s13, s8
	s_cselect_b32 s11, s12, s11
	s_add_i32 s12, s8, 1
	s_cmp_ge_u32 s11, s9
	s_cselect_b32 s8, s12, s8
	s_xor_b32 s8, s8, s10
	s_sub_i32 s37, s8, s10
	s_abs_i32 s36, s37
	v_cvt_f32_u32_e32 v1, s36
	s_load_dwordx16 s[8:23], s[4:5], 0x0
	v_rcp_iflag_f32_e32 v1, v1
	s_waitcnt lgkmcnt(0)
	s_cmp_eq_u64 s[14:15], 0
	v_mul_f32_e32 v1, 0x4f7ffffe, v1
	v_cvt_u32_f32_e32 v1, v1
	v_readfirstlane_b32 s24, v1
	s_cbranch_scc1 .LBB31_2
; %bb.1:
	s_abs_i32 s25, s34
	v_cvt_f32_u32_e32 v1, s25
	s_sub_i32 s34, 0, s25
	s_abs_i32 s31, s33
	s_ashr_i32 s30, s33, 31
	v_rcp_iflag_f32_e32 v1, v1
	s_load_dwordx2 s[26:27], s[4:5], 0xc8
	v_mul_f32_e32 v1, 0x4f7ffffe, v1
	v_cvt_u32_f32_e32 v1, v1
	v_readfirstlane_b32 s38, v1
	s_mul_i32 s34, s34, s38
	s_mul_hi_u32 s34, s38, s34
	s_add_i32 s38, s38, s34
	s_mul_hi_u32 s34, s31, s38
	s_mul_i32 s34, s34, s25
	s_sub_i32 s31, s31, s34
	s_sub_i32 s34, s31, s25
	s_cmp_ge_u32 s31, s25
	s_cselect_b32 s31, s34, s31
	s_sub_i32 s34, s31, s25
	s_cmp_ge_u32 s31, s25
	s_cselect_b32 s25, s34, s31
	s_xor_b32 s25, s25, s30
	s_sub_i32 s25, s25, s30
	s_ashr_i32 s30, s25, 31
	s_waitcnt lgkmcnt(0)
	s_mul_i32 s27, s25, s27
	s_mul_hi_u32 s31, s25, s26
	s_add_i32 s27, s31, s27
	s_mul_i32 s30, s30, s26
	s_add_i32 s27, s27, s30
	s_mul_i32 s25, s25, s26
	s_add_u32 s30, s14, s25
	s_addc_u32 s31, s15, s27
.LBB31_2:
	s_load_dwordx4 s[40:43], s[4:5], 0x70
	v_bfe_u32 v4, v0, 10, 10
	v_and_b32_e32 v1, 3, v4
	v_lshrrev_b32_e32 v5, 2, v4
	v_lshl_add_u32 v12, s6, 1, v5
	s_waitcnt lgkmcnt(0)
	s_mul_i32 s14, s33, s42
	s_ashr_i32 s25, s14, 31
	s_mul_i32 s15, s29, s41
	s_add_u32 s8, s8, s14
	s_addc_u32 s9, s9, s25
	s_ashr_i32 s14, s15, 31
	s_add_u32 s15, s8, s15
	s_addc_u32 s14, s9, s14
	s_ashr_i32 s25, s41, 31
	v_mov_b32_e32 v2, s41
	v_alignbit_b32 v2, s25, v2, 2
	v_mad_u64_u32 v[6:7], s[8:9], v2, v1, 0
	v_mov_b32_e32 v2, v7
	s_lshr_b32 s8, s25, 2
	v_mad_u64_u32 v[2:3], s[8:9], s8, v1, v[2:3]
	v_mov_b32_e32 v7, v2
	v_mul_hi_u32 v2, s0, v12
	v_add_u32_e32 v2, v12, v2
	v_lshrrev_b32_e32 v2, s1, v2
	v_mul_lo_u32 v2, v2, s2
	s_ashr_i32 s8, s40, 31
	v_mov_b32_e32 v3, s40
	v_sub_u32_e32 v2, v12, v2
	v_alignbit_b32 v3, s8, v3, 2
	v_mad_u64_u32 v[8:9], s[0:1], v3, v2, 0
	v_mov_b32_e32 v10, v9
	s_lshr_b32 s0, s8, 2
	v_mad_u64_u32 v[10:11], s[0:1], s0, v2, v[10:11]
	v_lshlrev_b64 v[6:7], 2, v[6:7]
	v_mov_b32_e32 v9, v10
	v_mov_b32_e32 v3, s14
	v_add_co_u32_e32 v5, vcc, s15, v6
	v_addc_co_u32_e32 v3, vcc, v3, v7, vcc
	v_lshlrev_b64 v[6:7], 2, v[8:9]
	v_and_b32_e32 v0, 0x3ff, v0
	v_add_co_u32_e32 v5, vcc, v5, v6
	v_addc_co_u32_e32 v3, vcc, v3, v7, vcc
	v_lshlrev_b32_e32 v6, 4, v0
	v_add_co_u32_e32 v10, vcc, v5, v6
	v_addc_co_u32_e32 v11, vcc, 0, v3, vcc
	global_load_dwordx4 v[6:9], v[10:11], off
	global_load_dwordx4 v[14:17], v[10:11], off offset:512
	global_load_dwordx4 v[18:21], v[10:11], off offset:1024
	;; [unrolled: 1-line block ×3, first 2 shown]
	s_load_dword s0, s[4:5], 0x40
	s_mov_b32 s1, 0
	v_lshlrev_b32_e32 v3, 8, v4
	v_lshlrev_b32_e32 v5, 1, v0
	v_add_lshl_u32 v3, v5, v3, 2
	v_add_u32_e32 v3, 0x2000, v3
	s_cmp_eq_u64 s[18:19], 0
	s_waitcnt vmcnt(3) lgkmcnt(0)
	v_pk_mul_f32 v[6:7], v[6:7], s[0:1] op_sel_hi:[1,0]
	v_pk_mul_f32 v[8:9], v[8:9], s[0:1] op_sel_hi:[1,0]
	s_waitcnt vmcnt(2)
	v_pk_mul_f32 v[10:11], v[14:15], s[0:1] op_sel_hi:[1,0]
	v_pk_mul_f32 v[14:15], v[16:17], s[0:1] op_sel_hi:[1,0]
	s_waitcnt vmcnt(1)
	;; [unrolled: 3-line block ×3, first 2 shown]
	v_pk_mul_f32 v[20:21], v[22:23], s[0:1] op_sel_hi:[1,0]
	v_pk_mul_f32 v[22:23], v[24:25], s[0:1] op_sel_hi:[1,0]
	v_cvt_f16_f32_e32 v5, v7
	v_cvt_f16_f32_e32 v6, v6
	;; [unrolled: 1-line block ×16, first 2 shown]
	v_pack_b32_f16 v7, v8, v7
	v_pack_b32_f16 v6, v6, v5
	;; [unrolled: 1-line block ×8, first 2 shown]
	ds_write2_b64 v3, v[6:7], v[8:9] offset0:128 offset1:160
	ds_write2_b64 v3, v[10:11], v[14:15] offset0:192 offset1:224
	s_waitcnt lgkmcnt(0)
	s_barrier
	s_cbranch_scc1 .LBB31_4
; %bb.3:
	s_load_dword s0, s[4:5], 0xd0
	s_waitcnt lgkmcnt(0)
	s_mul_i32 s0, s0, s33
	s_add_i32 s0, s0, s6
	s_lshl_b64 s[0:1], s[0:1], 2
	s_add_u32 s0, s18, s0
	s_addc_u32 s1, s19, s1
	s_load_dword s28, s[0:1], 0x0
.LBB31_4:
	s_lshl_b32 s6, s7, 6
	v_lshlrev_b32_e32 v13, 2, v0
	s_waitcnt lgkmcnt(0)
	s_cmp_lt_i32 s6, s28
	v_mbcnt_lo_u32_b32 v29, -1, 0
	s_cbranch_scc1 .LBB31_6
; %bb.5:
	v_mbcnt_hi_u32_b32 v3, -1, v29
	v_and_b32_e32 v5, 0x60, v3
	s_mov_b32 s8, 0
	v_add_u32_e32 v9, 32, v5
	v_xor_b32_e32 v10, 16, v3
	v_xor_b32_e32 v11, 8, v3
	;; [unrolled: 1-line block ×5, first 2 shown]
	s_mov_b64 s[0:1], 0
	s_mov_b32 s9, 0xfeffffff
	s_branch .LBB31_7
.LBB31_6:
	s_mov_b64 s[0:1], -1
                                        ; implicit-def: $sgpr9
                                        ; implicit-def: $sgpr8
                                        ; implicit-def: $vgpr3
                                        ; implicit-def: $vgpr9
                                        ; implicit-def: $vgpr10
                                        ; implicit-def: $vgpr11
                                        ; implicit-def: $vgpr40
                                        ; implicit-def: $vgpr41
                                        ; implicit-def: $vgpr42
.LBB31_7:
	s_andn2_b64 vcc, exec, s[0:1]
	v_mov_b32_e32 v8, s9
	v_mov_b32_e32 v43, s8
	;; [unrolled: 1-line block ×10, first 2 shown]
	s_cbranch_vccnz .LBB31_19
; %bb.8:
	s_sub_i32 s0, 0, s36
	s_mul_i32 s0, s0, s24
	s_mul_hi_u32 s0, s24, s0
	s_abs_i32 s19, s29
	s_add_i32 s24, s24, s0
	s_mul_hi_u32 s34, s19, s24
	s_load_dwordx4 s[24:27], s[4:5], 0x98
	s_load_dword s14, s[4:5], 0x54
	s_load_dwordx2 s[0:1], s[4:5], 0x8c
	s_ashr_i32 s38, s29, 31
	s_ashr_i32 s37, s37, 31
	s_waitcnt lgkmcnt(0)
	s_ashr_i32 s15, s26, 2
	s_ashr_i32 s26, s35, 1
	;; [unrolled: 1-line block ×4, first 2 shown]
	s_mul_i32 s25, s33, s25
	s_mul_hi_u32 s35, s33, s24
	s_add_i32 s25, s35, s25
	s_mul_i32 s35, s0, s24
	s_add_i32 s25, s25, s35
	s_mul_i32 s24, s33, s24
	s_add_u32 s10, s10, s24
	s_addc_u32 s11, s11, s25
	s_mul_i32 s25, s34, s36
	s_sub_i32 s19, s19, s25
	s_xor_b32 s24, s38, s37
	s_add_i32 s25, s34, 1
	s_sub_i32 s35, s19, s36
	s_cmp_ge_u32 s19, s36
	s_cselect_b32 s25, s25, s34
	s_cselect_b32 s19, s35, s19
	s_add_i32 s34, s25, 1
	s_cmp_ge_u32 s19, s36
	s_load_dwordx2 s[8:9], s[4:5], 0xa8
	s_cselect_b32 s19, s34, s25
	s_xor_b32 s19, s19, s24
	s_sub_i32 s19, s19, s24
	s_mul_i32 s1, s19, s1
	s_ashr_i32 s24, s1, 31
	s_add_u32 s10, s10, s1
	s_waitcnt lgkmcnt(0)
	s_mul_i32 s1, s33, s9
	s_mul_hi_u32 s9, s33, s8
	s_addc_u32 s11, s11, s24
	s_add_i32 s1, s9, s1
	s_mul_i32 s0, s0, s8
	s_add_i32 s1, s1, s0
	s_mul_i32 s0, s33, s8
	s_add_u32 s0, s12, s0
	s_mul_i32 s19, s19, s27
	s_addc_u32 s1, s13, s1
	s_ashr_i32 s8, s19, 31
	v_lshrrev_b32_e32 v3, 3, v0
	v_and_b32_e32 v6, 28, v13
	s_add_u32 s9, s0, s19
	v_lshl_add_u32 v3, v4, 2, v3
	v_lshlrev_b32_e32 v5, 2, v6
	s_movk_i32 s0, 0x90
	s_addc_u32 s8, s1, s8
	v_mad_u32_u24 v14, v3, s0, v5
	v_mul_lo_u32 v8, s18, v3
	v_mad_u64_u32 v[2:3], s[0:1], v2, s26, v[0:1]
	v_mov_b32_e32 v3, 0x4400
	v_lshlrev_b32_e32 v5, 10, v4
	v_lshl_add_u32 v18, v4, 7, v3
	v_lshlrev_b32_e32 v3, 2, v13
	v_mul_lo_u32 v4, s15, v4
	v_add_u32_e32 v16, 0x2400, v5
	v_add_u32_e32 v20, v5, v3
	v_ashrrev_i32_e32 v5, 31, v4
	v_lshlrev_b64 v[4:5], 2, v[4:5]
	v_mov_b32_e32 v7, s8
	v_add_co_u32_e32 v4, vcc, s9, v4
	v_lshl_add_u32 v10, s18, 5, v8
	v_addc_co_u32_e32 v5, vcc, v7, v5, vcc
	v_ashrrev_i32_e32 v9, 31, v8
	v_ashrrev_i32_e32 v11, 31, v10
	s_add_u32 s0, s4, 0xd0
	v_add_co_u32_e32 v23, vcc, v4, v3
	v_mov_b32_e32 v30, 0
	v_add_u32_e32 v15, 0x1200, v14
	v_mul_u32_u24_e32 v17, 0x90, v0
	v_lshl_add_u32 v19, v0, 1, v18
	v_add_u32_e32 v21, 0x200, v20
	v_lshlrev_b32_e32 v22, 3, v0
	s_addc_u32 s1, s5, 0
	v_addc_co_u32_e32 v24, vcc, 0, v5, vcc
	v_mov_b32_e32 v39, 0xfeffffff
	v_lshlrev_b64 v[4:5], 2, v[8:9]
	v_lshlrev_b32_e32 v25, 2, v6
	v_lshlrev_b64 v[6:7], 2, v[10:11]
	s_mov_b32 s12, 0x3f200000
	s_mov_b32 s13, 0x3fb8aa3b
	;; [unrolled: 1-line block ×4, first 2 shown]
	v_mov_b32_e32 v26, 0xbd5c1c4e
	v_mov_b32_e32 v27, 0x3e088382
	;; [unrolled: 1-line block ×3, first 2 shown]
	s_brev_b32 s25, -2
	v_mbcnt_hi_u32_b32 v3, -1, v29
	v_mov_b32_e32 v29, 0x7f800000
	v_mov_b32_e32 v33, 0
	;; [unrolled: 1-line block ×9, first 2 shown]
.LBB31_9:                               ; =>This Inner Loop Header: Depth=1
	s_mul_hi_i32 s9, s6, s18
	s_mul_i32 s8, s6, s18
	s_lshl_b64 s[8:9], s[8:9], 2
	s_add_u32 s8, s10, s8
	s_addc_u32 s9, s11, s9
	v_mov_b32_e32 v8, s9
	v_add_co_u32_e32 v9, vcc, s8, v4
	v_addc_co_u32_e32 v10, vcc, v8, v5, vcc
	v_add_co_u32_e32 v8, vcc, v9, v25
	v_addc_co_u32_e32 v9, vcc, 0, v10, vcc
	v_mov_b32_e32 v10, s9
	v_add_co_u32_e32 v11, vcc, s8, v6
	v_addc_co_u32_e32 v40, vcc, v10, v7, vcc
	v_add_co_u32_e32 v10, vcc, v11, v25
	v_addc_co_u32_e32 v11, vcc, 0, v40, vcc
	global_load_dwordx4 v[40:43], v[8:9], off
	global_load_dwordx4 v[44:47], v[10:11], off
	s_waitcnt vmcnt(1)
	ds_write_b128 v14, v[40:43]
	s_waitcnt vmcnt(0)
	ds_write_b128 v15, v[44:47]
	s_waitcnt lgkmcnt(0)
	s_barrier
	ds_read_b128 v[42:45], v17
	ds_read_b128 v[46:49], v16
	v_mov_b32_e32 v40, 0
	ds_read_b128 v[50:53], v17 offset:4608
	s_waitcnt lgkmcnt(1)
	;;#ASMSTART
	v_dot2_f32_f16 v40, v42, v46, v40
	;;#ASMEND
	;;#ASMSTART
	v_dot2_f32_f16 v40, v43, v47, v40
	;;#ASMEND
	v_mov_b32_e32 v41, 0
	;;#ASMSTART
	v_dot2_f32_f16 v40, v44, v48, v40
	;;#ASMEND
	;;#ASMSTART
	v_dot2_f32_f16 v40, v45, v49, v40
	;;#ASMEND
	s_waitcnt lgkmcnt(0)
	;;#ASMSTART
	v_dot2_f32_f16 v41, v50, v46, v41
	;;#ASMEND
	;;#ASMSTART
	v_dot2_f32_f16 v41, v51, v47, v41
	;;#ASMEND
	;;#ASMSTART
	v_dot2_f32_f16 v41, v52, v48, v41
	;;#ASMEND
	;;#ASMSTART
	v_dot2_f32_f16 v41, v53, v49, v41
	;;#ASMEND
	ds_read_b128 v[42:45], v17 offset:16
	ds_read_b128 v[46:49], v16 offset:16
	ds_read_b128 v[50:53], v17 offset:4624
	s_waitcnt lgkmcnt(1)
	;;#ASMSTART
	v_dot2_f32_f16 v40, v42, v46, v40
	;;#ASMEND
	;;#ASMSTART
	v_dot2_f32_f16 v40, v43, v47, v40
	;;#ASMEND
	;;#ASMSTART
	v_dot2_f32_f16 v40, v44, v48, v40
	;;#ASMEND
	;;#ASMSTART
	v_dot2_f32_f16 v40, v45, v49, v40
	;;#ASMEND
	s_waitcnt lgkmcnt(0)
	;;#ASMSTART
	v_dot2_f32_f16 v41, v50, v46, v41
	;;#ASMEND
	;;#ASMSTART
	v_dot2_f32_f16 v41, v51, v47, v41
	;;#ASMEND
	;;#ASMSTART
	v_dot2_f32_f16 v41, v52, v48, v41
	;;#ASMEND
	;;#ASMSTART
	v_dot2_f32_f16 v41, v53, v49, v41
	;;#ASMEND
	ds_read_b128 v[42:45], v17 offset:32
	ds_read_b128 v[46:49], v16 offset:32
	ds_read_b128 v[50:53], v17 offset:4640
	s_waitcnt lgkmcnt(1)
	;;#ASMSTART
	v_dot2_f32_f16 v40, v42, v46, v40
	;;#ASMEND
	;;#ASMSTART
	v_dot2_f32_f16 v40, v43, v47, v40
	;;#ASMEND
	;; [unrolled: 29-line block ×7, first 2 shown]
	;;#ASMSTART
	v_dot2_f32_f16 v40, v44, v48, v40
	;;#ASMEND
	;;#ASMSTART
	v_dot2_f32_f16 v40, v45, v49, v40
	;;#ASMEND
	s_waitcnt lgkmcnt(0)
	;;#ASMSTART
	v_dot2_f32_f16 v41, v50, v46, v41
	;;#ASMEND
	;;#ASMSTART
	v_dot2_f32_f16 v41, v51, v47, v41
	;;#ASMEND
	;; [unrolled: 3-line block ×4, first 2 shown]
	s_barrier
	global_load_dwordx4 v[42:45], v[8:9], off offset:128
	global_load_dwordx4 v[46:49], v[10:11], off offset:128
	s_waitcnt vmcnt(1)
	ds_write_b128 v14, v[42:45]
	s_waitcnt vmcnt(0)
	ds_write_b128 v15, v[46:49]
	s_waitcnt lgkmcnt(0)
	s_barrier
	ds_read_b128 v[42:45], v17
	ds_read_b128 v[46:49], v16 offset:128
	ds_read_b128 v[50:53], v17 offset:4608
	s_waitcnt lgkmcnt(1)
	;;#ASMSTART
	v_dot2_f32_f16 v40, v42, v46, v40
	;;#ASMEND
	;;#ASMSTART
	v_dot2_f32_f16 v40, v43, v47, v40
	;;#ASMEND
	;;#ASMSTART
	v_dot2_f32_f16 v40, v44, v48, v40
	;;#ASMEND
	;;#ASMSTART
	v_dot2_f32_f16 v40, v45, v49, v40
	;;#ASMEND
	s_waitcnt lgkmcnt(0)
	;;#ASMSTART
	v_dot2_f32_f16 v41, v50, v46, v41
	;;#ASMEND
	;;#ASMSTART
	v_dot2_f32_f16 v41, v51, v47, v41
	;;#ASMEND
	;;#ASMSTART
	v_dot2_f32_f16 v41, v52, v48, v41
	;;#ASMEND
	;;#ASMSTART
	v_dot2_f32_f16 v41, v53, v49, v41
	;;#ASMEND
	ds_read_b128 v[42:45], v17 offset:16
	ds_read_b128 v[46:49], v16 offset:144
	ds_read_b128 v[50:53], v17 offset:4624
	s_waitcnt lgkmcnt(1)
	;;#ASMSTART
	v_dot2_f32_f16 v40, v42, v46, v40
	;;#ASMEND
	;;#ASMSTART
	v_dot2_f32_f16 v40, v43, v47, v40
	;;#ASMEND
	;;#ASMSTART
	v_dot2_f32_f16 v40, v44, v48, v40
	;;#ASMEND
	;;#ASMSTART
	v_dot2_f32_f16 v40, v45, v49, v40
	;;#ASMEND
	s_waitcnt lgkmcnt(0)
	;;#ASMSTART
	v_dot2_f32_f16 v41, v50, v46, v41
	;;#ASMEND
	;;#ASMSTART
	v_dot2_f32_f16 v41, v51, v47, v41
	;;#ASMEND
	;;#ASMSTART
	v_dot2_f32_f16 v41, v52, v48, v41
	;;#ASMEND
	;;#ASMSTART
	v_dot2_f32_f16 v41, v53, v49, v41
	;;#ASMEND
	ds_read_b128 v[42:45], v17 offset:32
	;; [unrolled: 29-line block ×7, first 2 shown]
	ds_read_b128 v[46:49], v16 offset:240
	ds_read_b128 v[50:53], v17 offset:4720
	s_waitcnt lgkmcnt(1)
	;;#ASMSTART
	v_dot2_f32_f16 v40, v42, v46, v40
	;;#ASMEND
	;;#ASMSTART
	v_dot2_f32_f16 v40, v43, v47, v40
	;;#ASMEND
	;; [unrolled: 3-line block ×4, first 2 shown]
	s_waitcnt lgkmcnt(0)
	;;#ASMSTART
	v_dot2_f32_f16 v41, v50, v46, v41
	;;#ASMEND
	;;#ASMSTART
	v_dot2_f32_f16 v41, v51, v47, v41
	;;#ASMEND
	;; [unrolled: 3-line block ×4, first 2 shown]
	s_barrier
	global_load_dwordx4 v[42:45], v[8:9], off offset:256
	global_load_dwordx4 v[46:49], v[10:11], off offset:256
	s_waitcnt vmcnt(1)
	ds_write_b128 v14, v[42:45]
	s_waitcnt vmcnt(0)
	ds_write_b128 v15, v[46:49]
	s_waitcnt lgkmcnt(0)
	s_barrier
	ds_read_b128 v[42:45], v17
	ds_read_b128 v[46:49], v16 offset:256
	ds_read_b128 v[50:53], v17 offset:4608
	s_waitcnt lgkmcnt(1)
	;;#ASMSTART
	v_dot2_f32_f16 v40, v42, v46, v40
	;;#ASMEND
	;;#ASMSTART
	v_dot2_f32_f16 v40, v43, v47, v40
	;;#ASMEND
	;;#ASMSTART
	v_dot2_f32_f16 v40, v44, v48, v40
	;;#ASMEND
	;;#ASMSTART
	v_dot2_f32_f16 v40, v45, v49, v40
	;;#ASMEND
	s_waitcnt lgkmcnt(0)
	;;#ASMSTART
	v_dot2_f32_f16 v41, v50, v46, v41
	;;#ASMEND
	;;#ASMSTART
	v_dot2_f32_f16 v41, v51, v47, v41
	;;#ASMEND
	;;#ASMSTART
	v_dot2_f32_f16 v41, v52, v48, v41
	;;#ASMEND
	;;#ASMSTART
	v_dot2_f32_f16 v41, v53, v49, v41
	;;#ASMEND
	ds_read_b128 v[42:45], v17 offset:16
	ds_read_b128 v[46:49], v16 offset:272
	ds_read_b128 v[50:53], v17 offset:4624
	s_waitcnt lgkmcnt(1)
	;;#ASMSTART
	v_dot2_f32_f16 v40, v42, v46, v40
	;;#ASMEND
	;;#ASMSTART
	v_dot2_f32_f16 v40, v43, v47, v40
	;;#ASMEND
	;;#ASMSTART
	v_dot2_f32_f16 v40, v44, v48, v40
	;;#ASMEND
	;;#ASMSTART
	v_dot2_f32_f16 v40, v45, v49, v40
	;;#ASMEND
	s_waitcnt lgkmcnt(0)
	;;#ASMSTART
	v_dot2_f32_f16 v41, v50, v46, v41
	;;#ASMEND
	;;#ASMSTART
	v_dot2_f32_f16 v41, v51, v47, v41
	;;#ASMEND
	;;#ASMSTART
	v_dot2_f32_f16 v41, v52, v48, v41
	;;#ASMEND
	;;#ASMSTART
	v_dot2_f32_f16 v41, v53, v49, v41
	;;#ASMEND
	ds_read_b128 v[42:45], v17 offset:32
	;; [unrolled: 29-line block ×7, first 2 shown]
	ds_read_b128 v[46:49], v16 offset:368
	ds_read_b128 v[50:53], v17 offset:4720
	s_waitcnt lgkmcnt(1)
	;;#ASMSTART
	v_dot2_f32_f16 v40, v42, v46, v40
	;;#ASMEND
	;;#ASMSTART
	v_dot2_f32_f16 v40, v43, v47, v40
	;;#ASMEND
	;; [unrolled: 3-line block ×4, first 2 shown]
	s_waitcnt lgkmcnt(0)
	;;#ASMSTART
	v_dot2_f32_f16 v41, v50, v46, v41
	;;#ASMEND
	;;#ASMSTART
	v_dot2_f32_f16 v41, v51, v47, v41
	;;#ASMEND
	;; [unrolled: 3-line block ×4, first 2 shown]
	s_barrier
	global_load_dwordx4 v[42:45], v[8:9], off offset:384
	global_load_dwordx4 v[46:49], v[10:11], off offset:384
	s_waitcnt vmcnt(1)
	ds_write_b128 v14, v[42:45]
	s_waitcnt vmcnt(0)
	ds_write_b128 v15, v[46:49]
	s_waitcnt lgkmcnt(0)
	s_barrier
	ds_read_b128 v[42:45], v17
	ds_read_b128 v[46:49], v16 offset:384
	ds_read_b128 v[50:53], v17 offset:4608
	s_waitcnt lgkmcnt(1)
	;;#ASMSTART
	v_dot2_f32_f16 v40, v42, v46, v40
	;;#ASMEND
	;;#ASMSTART
	v_dot2_f32_f16 v40, v43, v47, v40
	;;#ASMEND
	;;#ASMSTART
	v_dot2_f32_f16 v40, v44, v48, v40
	;;#ASMEND
	;;#ASMSTART
	v_dot2_f32_f16 v40, v45, v49, v40
	;;#ASMEND
	s_waitcnt lgkmcnt(0)
	;;#ASMSTART
	v_dot2_f32_f16 v41, v50, v46, v41
	;;#ASMEND
	;;#ASMSTART
	v_dot2_f32_f16 v41, v51, v47, v41
	;;#ASMEND
	;;#ASMSTART
	v_dot2_f32_f16 v41, v52, v48, v41
	;;#ASMEND
	;;#ASMSTART
	v_dot2_f32_f16 v41, v53, v49, v41
	;;#ASMEND
	ds_read_b128 v[42:45], v17 offset:16
	ds_read_b128 v[46:49], v16 offset:400
	ds_read_b128 v[50:53], v17 offset:4624
	s_waitcnt lgkmcnt(1)
	;;#ASMSTART
	v_dot2_f32_f16 v40, v42, v46, v40
	;;#ASMEND
	;;#ASMSTART
	v_dot2_f32_f16 v40, v43, v47, v40
	;;#ASMEND
	;;#ASMSTART
	v_dot2_f32_f16 v40, v44, v48, v40
	;;#ASMEND
	;;#ASMSTART
	v_dot2_f32_f16 v40, v45, v49, v40
	;;#ASMEND
	s_waitcnt lgkmcnt(0)
	;;#ASMSTART
	v_dot2_f32_f16 v41, v50, v46, v41
	;;#ASMEND
	;;#ASMSTART
	v_dot2_f32_f16 v41, v51, v47, v41
	;;#ASMEND
	;;#ASMSTART
	v_dot2_f32_f16 v41, v52, v48, v41
	;;#ASMEND
	;;#ASMSTART
	v_dot2_f32_f16 v41, v53, v49, v41
	;;#ASMEND
	ds_read_b128 v[42:45], v17 offset:32
	;; [unrolled: 29-line block ×7, first 2 shown]
	ds_read_b128 v[46:49], v16 offset:496
	ds_read_b128 v[50:53], v17 offset:4720
	s_waitcnt lgkmcnt(1)
	;;#ASMSTART
	v_dot2_f32_f16 v40, v42, v46, v40
	;;#ASMEND
	;;#ASMSTART
	v_dot2_f32_f16 v40, v43, v47, v40
	;;#ASMEND
	;; [unrolled: 3-line block ×4, first 2 shown]
	s_waitcnt lgkmcnt(0)
	;;#ASMSTART
	v_dot2_f32_f16 v41, v50, v46, v41
	;;#ASMEND
	;;#ASMSTART
	v_dot2_f32_f16 v41, v51, v47, v41
	;;#ASMEND
	;; [unrolled: 3-line block ×4, first 2 shown]
	s_barrier
	global_load_dwordx4 v[42:45], v[8:9], off offset:512
	global_load_dwordx4 v[46:49], v[10:11], off offset:512
	s_waitcnt vmcnt(1)
	ds_write_b128 v14, v[42:45]
	s_waitcnt vmcnt(0)
	ds_write_b128 v15, v[46:49]
	s_waitcnt lgkmcnt(0)
	s_barrier
	ds_read_b128 v[42:45], v17
	ds_read_b128 v[46:49], v16 offset:512
	ds_read_b128 v[50:53], v17 offset:4608
	s_waitcnt lgkmcnt(1)
	;;#ASMSTART
	v_dot2_f32_f16 v40, v42, v46, v40
	;;#ASMEND
	;;#ASMSTART
	v_dot2_f32_f16 v40, v43, v47, v40
	;;#ASMEND
	;;#ASMSTART
	v_dot2_f32_f16 v40, v44, v48, v40
	;;#ASMEND
	;;#ASMSTART
	v_dot2_f32_f16 v40, v45, v49, v40
	;;#ASMEND
	s_waitcnt lgkmcnt(0)
	;;#ASMSTART
	v_dot2_f32_f16 v41, v50, v46, v41
	;;#ASMEND
	;;#ASMSTART
	v_dot2_f32_f16 v41, v51, v47, v41
	;;#ASMEND
	;;#ASMSTART
	v_dot2_f32_f16 v41, v52, v48, v41
	;;#ASMEND
	;;#ASMSTART
	v_dot2_f32_f16 v41, v53, v49, v41
	;;#ASMEND
	ds_read_b128 v[42:45], v17 offset:16
	ds_read_b128 v[46:49], v16 offset:528
	ds_read_b128 v[50:53], v17 offset:4624
	s_waitcnt lgkmcnt(1)
	;;#ASMSTART
	v_dot2_f32_f16 v40, v42, v46, v40
	;;#ASMEND
	;;#ASMSTART
	v_dot2_f32_f16 v40, v43, v47, v40
	;;#ASMEND
	;;#ASMSTART
	v_dot2_f32_f16 v40, v44, v48, v40
	;;#ASMEND
	;;#ASMSTART
	v_dot2_f32_f16 v40, v45, v49, v40
	;;#ASMEND
	s_waitcnt lgkmcnt(0)
	;;#ASMSTART
	v_dot2_f32_f16 v41, v50, v46, v41
	;;#ASMEND
	;;#ASMSTART
	v_dot2_f32_f16 v41, v51, v47, v41
	;;#ASMEND
	;;#ASMSTART
	v_dot2_f32_f16 v41, v52, v48, v41
	;;#ASMEND
	;;#ASMSTART
	v_dot2_f32_f16 v41, v53, v49, v41
	;;#ASMEND
	ds_read_b128 v[42:45], v17 offset:32
	;; [unrolled: 29-line block ×7, first 2 shown]
	ds_read_b128 v[46:49], v16 offset:624
	ds_read_b128 v[50:53], v17 offset:4720
	s_waitcnt lgkmcnt(1)
	;;#ASMSTART
	v_dot2_f32_f16 v40, v42, v46, v40
	;;#ASMEND
	;;#ASMSTART
	v_dot2_f32_f16 v40, v43, v47, v40
	;;#ASMEND
	;; [unrolled: 3-line block ×4, first 2 shown]
	s_waitcnt lgkmcnt(0)
	;;#ASMSTART
	v_dot2_f32_f16 v41, v50, v46, v41
	;;#ASMEND
	;;#ASMSTART
	v_dot2_f32_f16 v41, v51, v47, v41
	;;#ASMEND
	;; [unrolled: 3-line block ×4, first 2 shown]
	s_barrier
	global_load_dwordx4 v[42:45], v[8:9], off offset:640
	global_load_dwordx4 v[46:49], v[10:11], off offset:640
	s_waitcnt vmcnt(1)
	ds_write_b128 v14, v[42:45]
	s_waitcnt vmcnt(0)
	ds_write_b128 v15, v[46:49]
	s_waitcnt lgkmcnt(0)
	s_barrier
	ds_read_b128 v[42:45], v17
	ds_read_b128 v[46:49], v16 offset:640
	ds_read_b128 v[50:53], v17 offset:4608
	s_waitcnt lgkmcnt(1)
	;;#ASMSTART
	v_dot2_f32_f16 v40, v42, v46, v40
	;;#ASMEND
	;;#ASMSTART
	v_dot2_f32_f16 v40, v43, v47, v40
	;;#ASMEND
	;;#ASMSTART
	v_dot2_f32_f16 v40, v44, v48, v40
	;;#ASMEND
	;;#ASMSTART
	v_dot2_f32_f16 v40, v45, v49, v40
	;;#ASMEND
	s_waitcnt lgkmcnt(0)
	;;#ASMSTART
	v_dot2_f32_f16 v41, v50, v46, v41
	;;#ASMEND
	;;#ASMSTART
	v_dot2_f32_f16 v41, v51, v47, v41
	;;#ASMEND
	;;#ASMSTART
	v_dot2_f32_f16 v41, v52, v48, v41
	;;#ASMEND
	;;#ASMSTART
	v_dot2_f32_f16 v41, v53, v49, v41
	;;#ASMEND
	ds_read_b128 v[42:45], v17 offset:16
	ds_read_b128 v[46:49], v16 offset:656
	ds_read_b128 v[50:53], v17 offset:4624
	s_waitcnt lgkmcnt(1)
	;;#ASMSTART
	v_dot2_f32_f16 v40, v42, v46, v40
	;;#ASMEND
	;;#ASMSTART
	v_dot2_f32_f16 v40, v43, v47, v40
	;;#ASMEND
	;;#ASMSTART
	v_dot2_f32_f16 v40, v44, v48, v40
	;;#ASMEND
	;;#ASMSTART
	v_dot2_f32_f16 v40, v45, v49, v40
	;;#ASMEND
	s_waitcnt lgkmcnt(0)
	;;#ASMSTART
	v_dot2_f32_f16 v41, v50, v46, v41
	;;#ASMEND
	;;#ASMSTART
	v_dot2_f32_f16 v41, v51, v47, v41
	;;#ASMEND
	;;#ASMSTART
	v_dot2_f32_f16 v41, v52, v48, v41
	;;#ASMEND
	;;#ASMSTART
	v_dot2_f32_f16 v41, v53, v49, v41
	;;#ASMEND
	ds_read_b128 v[42:45], v17 offset:32
	;; [unrolled: 29-line block ×7, first 2 shown]
	ds_read_b128 v[46:49], v16 offset:752
	ds_read_b128 v[50:53], v17 offset:4720
	s_waitcnt lgkmcnt(1)
	;;#ASMSTART
	v_dot2_f32_f16 v40, v42, v46, v40
	;;#ASMEND
	;;#ASMSTART
	v_dot2_f32_f16 v40, v43, v47, v40
	;;#ASMEND
	;; [unrolled: 3-line block ×4, first 2 shown]
	s_waitcnt lgkmcnt(0)
	;;#ASMSTART
	v_dot2_f32_f16 v41, v50, v46, v41
	;;#ASMEND
	;;#ASMSTART
	v_dot2_f32_f16 v41, v51, v47, v41
	;;#ASMEND
	;; [unrolled: 3-line block ×4, first 2 shown]
	s_barrier
	global_load_dwordx4 v[42:45], v[8:9], off offset:768
	global_load_dwordx4 v[46:49], v[10:11], off offset:768
	s_waitcnt vmcnt(1)
	ds_write_b128 v14, v[42:45]
	s_waitcnt vmcnt(0)
	ds_write_b128 v15, v[46:49]
	s_waitcnt lgkmcnt(0)
	s_barrier
	ds_read_b128 v[42:45], v17
	ds_read_b128 v[46:49], v16 offset:768
	ds_read_b128 v[50:53], v17 offset:4608
	s_waitcnt lgkmcnt(1)
	;;#ASMSTART
	v_dot2_f32_f16 v40, v42, v46, v40
	;;#ASMEND
	;;#ASMSTART
	v_dot2_f32_f16 v40, v43, v47, v40
	;;#ASMEND
	;;#ASMSTART
	v_dot2_f32_f16 v40, v44, v48, v40
	;;#ASMEND
	;;#ASMSTART
	v_dot2_f32_f16 v40, v45, v49, v40
	;;#ASMEND
	s_waitcnt lgkmcnt(0)
	;;#ASMSTART
	v_dot2_f32_f16 v41, v50, v46, v41
	;;#ASMEND
	;;#ASMSTART
	v_dot2_f32_f16 v41, v51, v47, v41
	;;#ASMEND
	;;#ASMSTART
	v_dot2_f32_f16 v41, v52, v48, v41
	;;#ASMEND
	;;#ASMSTART
	v_dot2_f32_f16 v41, v53, v49, v41
	;;#ASMEND
	ds_read_b128 v[42:45], v17 offset:16
	ds_read_b128 v[46:49], v16 offset:784
	ds_read_b128 v[50:53], v17 offset:4624
	s_waitcnt lgkmcnt(1)
	;;#ASMSTART
	v_dot2_f32_f16 v40, v42, v46, v40
	;;#ASMEND
	;;#ASMSTART
	v_dot2_f32_f16 v40, v43, v47, v40
	;;#ASMEND
	;;#ASMSTART
	v_dot2_f32_f16 v40, v44, v48, v40
	;;#ASMEND
	;;#ASMSTART
	v_dot2_f32_f16 v40, v45, v49, v40
	;;#ASMEND
	s_waitcnt lgkmcnt(0)
	;;#ASMSTART
	v_dot2_f32_f16 v41, v50, v46, v41
	;;#ASMEND
	;;#ASMSTART
	v_dot2_f32_f16 v41, v51, v47, v41
	;;#ASMEND
	;;#ASMSTART
	v_dot2_f32_f16 v41, v52, v48, v41
	;;#ASMEND
	;;#ASMSTART
	v_dot2_f32_f16 v41, v53, v49, v41
	;;#ASMEND
	ds_read_b128 v[42:45], v17 offset:32
	ds_read_b128 v[46:49], v16 offset:800
	ds_read_b128 v[50:53], v17 offset:4640
	s_waitcnt lgkmcnt(1)
	;;#ASMSTART
	v_dot2_f32_f16 v40, v42, v46, v40
	;;#ASMEND
	;;#ASMSTART
	v_dot2_f32_f16 v40, v43, v47, v40
	;;#ASMEND
	;;#ASMSTART
	v_dot2_f32_f16 v40, v44, v48, v40
	;;#ASMEND
	;;#ASMSTART
	v_dot2_f32_f16 v40, v45, v49, v40
	;;#ASMEND
	s_waitcnt lgkmcnt(0)
	;;#ASMSTART
	v_dot2_f32_f16 v41, v50, v46, v41
	;;#ASMEND
	;;#ASMSTART
	v_dot2_f32_f16 v41, v51, v47, v41
	;;#ASMEND
	;;#ASMSTART
	v_dot2_f32_f16 v41, v52, v48, v41
	;;#ASMEND
	;;#ASMSTART
	v_dot2_f32_f16 v41, v53, v49, v41
	;;#ASMEND
	ds_read_b128 v[42:45], v17 offset:48
	ds_read_b128 v[46:49], v16 offset:816
	ds_read_b128 v[50:53], v17 offset:4656
	s_waitcnt lgkmcnt(1)
	;;#ASMSTART
	v_dot2_f32_f16 v40, v42, v46, v40
	;;#ASMEND
	;;#ASMSTART
	v_dot2_f32_f16 v40, v43, v47, v40
	;;#ASMEND
	;;#ASMSTART
	v_dot2_f32_f16 v40, v44, v48, v40
	;;#ASMEND
	;;#ASMSTART
	v_dot2_f32_f16 v40, v45, v49, v40
	;;#ASMEND
	s_waitcnt lgkmcnt(0)
	;;#ASMSTART
	v_dot2_f32_f16 v41, v50, v46, v41
	;;#ASMEND
	;;#ASMSTART
	v_dot2_f32_f16 v41, v51, v47, v41
	;;#ASMEND
	;;#ASMSTART
	v_dot2_f32_f16 v41, v52, v48, v41
	;;#ASMEND
	;;#ASMSTART
	v_dot2_f32_f16 v41, v53, v49, v41
	;;#ASMEND
	ds_read_b128 v[42:45], v17 offset:64
	ds_read_b128 v[46:49], v16 offset:832
	ds_read_b128 v[50:53], v17 offset:4672
	s_waitcnt lgkmcnt(1)
	;;#ASMSTART
	v_dot2_f32_f16 v40, v42, v46, v40
	;;#ASMEND
	;;#ASMSTART
	v_dot2_f32_f16 v40, v43, v47, v40
	;;#ASMEND
	;;#ASMSTART
	v_dot2_f32_f16 v40, v44, v48, v40
	;;#ASMEND
	;;#ASMSTART
	v_dot2_f32_f16 v40, v45, v49, v40
	;;#ASMEND
	s_waitcnt lgkmcnt(0)
	;;#ASMSTART
	v_dot2_f32_f16 v41, v50, v46, v41
	;;#ASMEND
	;;#ASMSTART
	v_dot2_f32_f16 v41, v51, v47, v41
	;;#ASMEND
	;;#ASMSTART
	v_dot2_f32_f16 v41, v52, v48, v41
	;;#ASMEND
	;;#ASMSTART
	v_dot2_f32_f16 v41, v53, v49, v41
	;;#ASMEND
	ds_read_b128 v[42:45], v17 offset:80
	ds_read_b128 v[46:49], v16 offset:848
	ds_read_b128 v[50:53], v17 offset:4688
	s_waitcnt lgkmcnt(1)
	;;#ASMSTART
	v_dot2_f32_f16 v40, v42, v46, v40
	;;#ASMEND
	;;#ASMSTART
	v_dot2_f32_f16 v40, v43, v47, v40
	;;#ASMEND
	;;#ASMSTART
	v_dot2_f32_f16 v40, v44, v48, v40
	;;#ASMEND
	;;#ASMSTART
	v_dot2_f32_f16 v40, v45, v49, v40
	;;#ASMEND
	s_waitcnt lgkmcnt(0)
	;;#ASMSTART
	v_dot2_f32_f16 v41, v50, v46, v41
	;;#ASMEND
	;;#ASMSTART
	v_dot2_f32_f16 v41, v51, v47, v41
	;;#ASMEND
	;;#ASMSTART
	v_dot2_f32_f16 v41, v52, v48, v41
	;;#ASMEND
	;;#ASMSTART
	v_dot2_f32_f16 v41, v53, v49, v41
	;;#ASMEND
	ds_read_b128 v[42:45], v17 offset:96
	ds_read_b128 v[46:49], v16 offset:864
	ds_read_b128 v[50:53], v17 offset:4704
	s_waitcnt lgkmcnt(1)
	;;#ASMSTART
	v_dot2_f32_f16 v40, v42, v46, v40
	;;#ASMEND
	;;#ASMSTART
	v_dot2_f32_f16 v40, v43, v47, v40
	;;#ASMEND
	;;#ASMSTART
	v_dot2_f32_f16 v40, v44, v48, v40
	;;#ASMEND
	;;#ASMSTART
	v_dot2_f32_f16 v40, v45, v49, v40
	;;#ASMEND
	s_waitcnt lgkmcnt(0)
	;;#ASMSTART
	v_dot2_f32_f16 v41, v50, v46, v41
	;;#ASMEND
	;;#ASMSTART
	v_dot2_f32_f16 v41, v51, v47, v41
	;;#ASMEND
	;;#ASMSTART
	v_dot2_f32_f16 v41, v52, v48, v41
	;;#ASMEND
	;;#ASMSTART
	v_dot2_f32_f16 v41, v53, v49, v41
	;;#ASMEND
	ds_read_b128 v[42:45], v17 offset:112
	ds_read_b128 v[46:49], v16 offset:880
	ds_read_b128 v[50:53], v17 offset:4720
	s_waitcnt lgkmcnt(1)
	;;#ASMSTART
	v_dot2_f32_f16 v40, v42, v46, v40
	;;#ASMEND
	;;#ASMSTART
	v_dot2_f32_f16 v40, v43, v47, v40
	;;#ASMEND
	;; [unrolled: 3-line block ×4, first 2 shown]
	s_waitcnt lgkmcnt(0)
	;;#ASMSTART
	v_dot2_f32_f16 v41, v50, v46, v41
	;;#ASMEND
	;;#ASMSTART
	v_dot2_f32_f16 v41, v51, v47, v41
	;;#ASMEND
	;; [unrolled: 3-line block ×4, first 2 shown]
	s_barrier
	global_load_dwordx4 v[42:45], v[8:9], off offset:896
	global_load_dwordx4 v[46:49], v[10:11], off offset:896
	s_waitcnt vmcnt(1)
	ds_write_b128 v14, v[42:45]
	s_waitcnt vmcnt(0)
	ds_write_b128 v15, v[46:49]
	s_waitcnt lgkmcnt(0)
	s_barrier
	ds_read_b128 v[8:11], v17
	ds_read_b128 v[42:45], v16 offset:896
	ds_read_b128 v[46:49], v17 offset:4608
	s_waitcnt lgkmcnt(1)
	;;#ASMSTART
	v_dot2_f32_f16 v40, v8, v42, v40
	;;#ASMEND
	;;#ASMSTART
	v_dot2_f32_f16 v40, v9, v43, v40
	;;#ASMEND
	;;#ASMSTART
	v_dot2_f32_f16 v40, v10, v44, v40
	;;#ASMEND
	;;#ASMSTART
	v_dot2_f32_f16 v40, v11, v45, v40
	;;#ASMEND
	s_waitcnt lgkmcnt(0)
	;;#ASMSTART
	v_dot2_f32_f16 v41, v46, v42, v41
	;;#ASMEND
	;;#ASMSTART
	v_dot2_f32_f16 v41, v47, v43, v41
	;;#ASMEND
	;;#ASMSTART
	v_dot2_f32_f16 v41, v48, v44, v41
	;;#ASMEND
	;;#ASMSTART
	v_dot2_f32_f16 v41, v49, v45, v41
	;;#ASMEND
	ds_read_b128 v[8:11], v17 offset:16
	ds_read_b128 v[42:45], v16 offset:912
	ds_read_b128 v[46:49], v17 offset:4624
	s_waitcnt lgkmcnt(1)
	;;#ASMSTART
	v_dot2_f32_f16 v40, v8, v42, v40
	;;#ASMEND
	;;#ASMSTART
	v_dot2_f32_f16 v40, v9, v43, v40
	;;#ASMEND
	;;#ASMSTART
	v_dot2_f32_f16 v40, v10, v44, v40
	;;#ASMEND
	;;#ASMSTART
	v_dot2_f32_f16 v40, v11, v45, v40
	;;#ASMEND
	s_waitcnt lgkmcnt(0)
	;;#ASMSTART
	v_dot2_f32_f16 v41, v46, v42, v41
	;;#ASMEND
	;;#ASMSTART
	v_dot2_f32_f16 v41, v47, v43, v41
	;;#ASMEND
	;;#ASMSTART
	v_dot2_f32_f16 v41, v48, v44, v41
	;;#ASMEND
	;;#ASMSTART
	v_dot2_f32_f16 v41, v49, v45, v41
	;;#ASMEND
	ds_read_b128 v[8:11], v17 offset:32
	ds_read_b128 v[42:45], v16 offset:928
	ds_read_b128 v[46:49], v17 offset:4640
	s_waitcnt lgkmcnt(1)
	;;#ASMSTART
	v_dot2_f32_f16 v40, v8, v42, v40
	;;#ASMEND
	;;#ASMSTART
	v_dot2_f32_f16 v40, v9, v43, v40
	;;#ASMEND
	;;#ASMSTART
	v_dot2_f32_f16 v40, v10, v44, v40
	;;#ASMEND
	;;#ASMSTART
	v_dot2_f32_f16 v40, v11, v45, v40
	;;#ASMEND
	s_waitcnt lgkmcnt(0)
	;;#ASMSTART
	v_dot2_f32_f16 v41, v46, v42, v41
	;;#ASMEND
	;;#ASMSTART
	v_dot2_f32_f16 v41, v47, v43, v41
	;;#ASMEND
	;;#ASMSTART
	v_dot2_f32_f16 v41, v48, v44, v41
	;;#ASMEND
	;;#ASMSTART
	v_dot2_f32_f16 v41, v49, v45, v41
	;;#ASMEND
	ds_read_b128 v[8:11], v17 offset:48
	ds_read_b128 v[42:45], v16 offset:944
	ds_read_b128 v[46:49], v17 offset:4656
	s_waitcnt lgkmcnt(1)
	;;#ASMSTART
	v_dot2_f32_f16 v40, v8, v42, v40
	;;#ASMEND
	;;#ASMSTART
	v_dot2_f32_f16 v40, v9, v43, v40
	;;#ASMEND
	;;#ASMSTART
	v_dot2_f32_f16 v40, v10, v44, v40
	;;#ASMEND
	;;#ASMSTART
	v_dot2_f32_f16 v40, v11, v45, v40
	;;#ASMEND
	s_waitcnt lgkmcnt(0)
	;;#ASMSTART
	v_dot2_f32_f16 v41, v46, v42, v41
	;;#ASMEND
	;;#ASMSTART
	v_dot2_f32_f16 v41, v47, v43, v41
	;;#ASMEND
	;;#ASMSTART
	v_dot2_f32_f16 v41, v48, v44, v41
	;;#ASMEND
	;;#ASMSTART
	v_dot2_f32_f16 v41, v49, v45, v41
	;;#ASMEND
	ds_read_b128 v[8:11], v17 offset:64
	ds_read_b128 v[42:45], v16 offset:960
	ds_read_b128 v[46:49], v17 offset:4672
	s_waitcnt lgkmcnt(1)
	;;#ASMSTART
	v_dot2_f32_f16 v40, v8, v42, v40
	;;#ASMEND
	;;#ASMSTART
	v_dot2_f32_f16 v40, v9, v43, v40
	;;#ASMEND
	;;#ASMSTART
	v_dot2_f32_f16 v40, v10, v44, v40
	;;#ASMEND
	;;#ASMSTART
	v_dot2_f32_f16 v40, v11, v45, v40
	;;#ASMEND
	s_waitcnt lgkmcnt(0)
	;;#ASMSTART
	v_dot2_f32_f16 v41, v46, v42, v41
	;;#ASMEND
	;;#ASMSTART
	v_dot2_f32_f16 v41, v47, v43, v41
	;;#ASMEND
	;;#ASMSTART
	v_dot2_f32_f16 v41, v48, v44, v41
	;;#ASMEND
	;;#ASMSTART
	v_dot2_f32_f16 v41, v49, v45, v41
	;;#ASMEND
	ds_read_b128 v[8:11], v17 offset:80
	ds_read_b128 v[42:45], v16 offset:976
	ds_read_b128 v[46:49], v17 offset:4688
	s_waitcnt lgkmcnt(1)
	;;#ASMSTART
	v_dot2_f32_f16 v40, v8, v42, v40
	;;#ASMEND
	;;#ASMSTART
	v_dot2_f32_f16 v40, v9, v43, v40
	;;#ASMEND
	;;#ASMSTART
	v_dot2_f32_f16 v40, v10, v44, v40
	;;#ASMEND
	;;#ASMSTART
	v_dot2_f32_f16 v40, v11, v45, v40
	;;#ASMEND
	s_waitcnt lgkmcnt(0)
	;;#ASMSTART
	v_dot2_f32_f16 v41, v46, v42, v41
	;;#ASMEND
	;;#ASMSTART
	v_dot2_f32_f16 v41, v47, v43, v41
	;;#ASMEND
	;;#ASMSTART
	v_dot2_f32_f16 v41, v48, v44, v41
	;;#ASMEND
	;;#ASMSTART
	v_dot2_f32_f16 v41, v49, v45, v41
	;;#ASMEND
	ds_read_b128 v[8:11], v17 offset:96
	ds_read_b128 v[42:45], v16 offset:992
	ds_read_b128 v[46:49], v17 offset:4704
	s_waitcnt lgkmcnt(1)
	;;#ASMSTART
	v_dot2_f32_f16 v40, v8, v42, v40
	;;#ASMEND
	;;#ASMSTART
	v_dot2_f32_f16 v40, v9, v43, v40
	;;#ASMEND
	;;#ASMSTART
	v_dot2_f32_f16 v40, v10, v44, v40
	;;#ASMEND
	;;#ASMSTART
	v_dot2_f32_f16 v40, v11, v45, v40
	;;#ASMEND
	s_waitcnt lgkmcnt(0)
	;;#ASMSTART
	v_dot2_f32_f16 v41, v46, v42, v41
	;;#ASMEND
	;;#ASMSTART
	v_dot2_f32_f16 v41, v47, v43, v41
	;;#ASMEND
	;;#ASMSTART
	v_dot2_f32_f16 v41, v48, v44, v41
	;;#ASMEND
	;;#ASMSTART
	v_dot2_f32_f16 v41, v49, v45, v41
	;;#ASMEND
	ds_read_b128 v[8:11], v17 offset:112
	ds_read_b128 v[42:45], v16 offset:1008
	ds_read_b128 v[46:49], v17 offset:4720
	s_waitcnt lgkmcnt(1)
	;;#ASMSTART
	v_dot2_f32_f16 v40, v8, v42, v40
	;;#ASMEND
	;;#ASMSTART
	v_dot2_f32_f16 v40, v9, v43, v40
	;;#ASMEND
	;;#ASMSTART
	v_dot2_f32_f16 v40, v10, v44, v40
	;;#ASMEND
	;;#ASMSTART
	v_dot2_f32_f16 v40, v11, v45, v40
	;;#ASMEND
	s_waitcnt lgkmcnt(0)
	;;#ASMSTART
	v_dot2_f32_f16 v41, v46, v42, v41
	;;#ASMEND
	;;#ASMSTART
	v_dot2_f32_f16 v41, v47, v43, v41
	;;#ASMEND
	;;#ASMSTART
	v_dot2_f32_f16 v41, v48, v44, v41
	;;#ASMEND
	v_cmp_nlt_f32_e64 s[8:9], |v40|, s12
	;;#ASMSTART
	v_dot2_f32_f16 v41, v49, v45, v41
	;;#ASMEND
                                        ; implicit-def: $vgpr10
	s_and_saveexec_b64 s[26:27], s[8:9]
	s_xor_b64 s[8:9], exec, s[26:27]
	s_cbranch_execz .LBB31_11
; %bb.10:                               ;   in Loop: Header=BB31_9 Depth=1
	v_add_f32_e64 v8, |v40|, |v40|
	v_mul_f32_e32 v9, 0x3fb8aa3b, v8
	v_rndne_f32_e32 v10, v9
	v_sub_f32_e32 v11, v9, v10
	v_fma_f32 v9, v8, s13, -v9
	v_fmac_f32_e32 v9, 0x32a5705f, v8
	v_add_f32_e32 v9, v11, v9
	v_cvt_i32_f32_e32 v10, v10
	v_exp_f32_e32 v9, v9
	v_cmp_ngt_f32_e32 vcc, s19, v8
	v_ldexp_f32 v9, v9, v10
	v_cndmask_b32_e32 v9, 0, v9, vcc
	v_cmp_nlt_f32_e32 vcc, s24, v8
	v_cndmask_b32_e32 v8, v29, v9, vcc
	v_add_f32_e32 v8, 1.0, v8
	v_rcp_f32_e32 v8, v8
	v_fma_f32 v10, v8, -2.0, 1.0
.LBB31_11:                              ;   in Loop: Header=BB31_9 Depth=1
	s_andn2_saveexec_b64 s[8:9], s[8:9]
; %bb.12:                               ;   in Loop: Header=BB31_9 Depth=1
	v_mul_f32_e32 v8, v40, v40
	v_mov_b32_e32 v9, 0x3ca908c9
	v_fmac_f32_e32 v9, 0xbbbac73d, v8
	v_fma_f32 v9, v8, v9, v26
	v_fma_f32 v9, v8, v9, v27
	v_fma_f32 v9, v8, v9, v28
	v_mul_f32_e64 v9, |v40|, v9
	v_fma_f32 v10, v8, v9, |v40|
; %bb.13:                               ;   in Loop: Header=BB31_9 Depth=1
	s_or_b64 exec, exec, s[8:9]
	v_add_u32_e32 v8, s6, v2
	v_ashrrev_i32_e32 v9, 31, v8
	v_lshlrev_b64 v[8:9], 1, v[8:9]
	v_mov_b32_e32 v11, s31
	v_add_co_u32_e32 v8, vcc, s30, v8
	v_addc_co_u32_e32 v9, vcc, v11, v9, vcc
	flat_load_ushort v11, v[8:9]
	v_cmp_nlt_f32_e64 s[8:9], |v41|, s12
                                        ; implicit-def: $vgpr42
	s_and_saveexec_b64 s[26:27], s[8:9]
	s_xor_b64 s[8:9], exec, s[26:27]
	s_cbranch_execz .LBB31_15
; %bb.14:                               ;   in Loop: Header=BB31_9 Depth=1
	v_add_f32_e64 v42, |v41|, |v41|
	v_mul_f32_e32 v43, 0x3fb8aa3b, v42
	v_rndne_f32_e32 v44, v43
	v_sub_f32_e32 v45, v43, v44
	v_fma_f32 v43, v42, s13, -v43
	v_fmac_f32_e32 v43, 0x32a5705f, v42
	v_add_f32_e32 v43, v45, v43
	v_cvt_i32_f32_e32 v44, v44
	v_exp_f32_e32 v43, v43
	v_cmp_ngt_f32_e32 vcc, s19, v42
	v_ldexp_f32 v43, v43, v44
	v_cndmask_b32_e32 v43, 0, v43, vcc
	v_cmp_nlt_f32_e32 vcc, s24, v42
	v_cndmask_b32_e32 v42, v29, v43, vcc
	v_add_f32_e32 v42, 1.0, v42
	v_rcp_f32_e32 v42, v42
	v_fma_f32 v42, v42, -2.0, 1.0
.LBB31_15:                              ;   in Loop: Header=BB31_9 Depth=1
	s_andn2_saveexec_b64 s[8:9], s[8:9]
; %bb.16:                               ;   in Loop: Header=BB31_9 Depth=1
	v_mul_f32_e32 v42, v41, v41
	v_mov_b32_e32 v43, 0x3ca908c9
	v_fmac_f32_e32 v43, 0xbbbac73d, v42
	v_fma_f32 v43, v42, v43, v26
	v_fma_f32 v43, v42, v43, v27
	;; [unrolled: 1-line block ×3, first 2 shown]
	v_mul_f32_e64 v43, |v41|, v43
	v_fma_f32 v42, v42, v43, |v41|
; %bb.17:                               ;   in Loop: Header=BB31_9 Depth=1
	s_or_b64 exec, exec, s[8:9]
	flat_load_ushort v8, v[8:9] offset:64
	v_bfi_b32 v10, s25, v10, v40
	s_waitcnt vmcnt(0) lgkmcnt(0)
	v_fma_mix_f32 v43, v10, s14, v11 op_sel_hi:[0,0,1]
	v_bfi_b32 v11, s25, v42, v41
	v_add_f32_e32 v10, 0x40051340, v43
	v_and_b32_e32 v9, 0x60, v3
	v_add_u32_e32 v9, 32, v9
	s_mul_hi_i32 s9, s6, s15
	s_mul_i32 s8, s6, s15
	s_lshl_b64 s[8:9], s[8:9], 2
	s_barrier
	v_fma_mix_f32 v44, v11, s14, v8 op_sel_hi:[0,0,1]
	v_add_f32_e32 v8, 0x40051340, v44
	v_max3_f32 v8, v39, v10, v8
	v_xor_b32_e32 v10, 16, v3
	v_cmp_lt_i32_e32 vcc, v10, v9
	v_cndmask_b32_e32 v11, v3, v10, vcc
	v_lshlrev_b32_e32 v11, 2, v11
	ds_bpermute_b32 v11, v11, v8
	s_waitcnt lgkmcnt(0)
	v_max_f32_e32 v11, v11, v11
	v_max_f32_e32 v8, v8, v11
	v_xor_b32_e32 v11, 8, v3
	v_cmp_lt_i32_e32 vcc, v11, v9
	v_cndmask_b32_e32 v40, v3, v11, vcc
	v_lshlrev_b32_e32 v40, 2, v40
	ds_bpermute_b32 v40, v40, v8
	s_waitcnt lgkmcnt(0)
	v_max_f32_e32 v40, v40, v40
	v_max_f32_e32 v8, v8, v40
	v_xor_b32_e32 v40, 4, v3
	v_cmp_lt_i32_e32 vcc, v40, v9
	v_cndmask_b32_e32 v41, v3, v40, vcc
	v_lshlrev_b32_e32 v41, 2, v41
	ds_bpermute_b32 v41, v41, v8
	s_waitcnt lgkmcnt(0)
	v_max_f32_e32 v41, v41, v41
	v_max_f32_e32 v8, v8, v41
	v_xor_b32_e32 v41, 2, v3
	v_cmp_lt_i32_e32 vcc, v41, v9
	v_cndmask_b32_e32 v42, v3, v41, vcc
	v_lshlrev_b32_e32 v42, 2, v42
	ds_bpermute_b32 v42, v42, v8
	s_waitcnt lgkmcnt(0)
	v_max_f32_e32 v42, v42, v42
	v_max_f32_e32 v8, v8, v42
	v_xor_b32_e32 v42, 1, v3
	v_cmp_lt_i32_e32 vcc, v42, v9
	v_cndmask_b32_e32 v45, v3, v42, vcc
	v_lshlrev_b32_e32 v45, 2, v45
	ds_bpermute_b32 v45, v45, v8
	s_waitcnt lgkmcnt(0)
	v_max_f32_e32 v45, v45, v45
	v_max_f32_e32 v8, v8, v45
	v_sub_f32_e32 v43, v43, v8
	v_mul_f32_e32 v45, 0x3fb8aa3b, v43
	v_fma_f32 v46, v43, s13, -v45
	v_rndne_f32_e32 v47, v45
	v_fmac_f32_e32 v46, 0x32a5705f, v43
	v_sub_f32_e32 v45, v45, v47
	v_add_f32_e32 v45, v45, v46
	v_exp_f32_e32 v45, v45
	v_cvt_i32_f32_e32 v46, v47
	v_sub_f32_e32 v44, v44, v8
	v_cmp_ngt_f32_e32 vcc, s19, v43
	v_sub_f32_e32 v39, v39, v8
	v_ldexp_f32 v45, v45, v46
	v_mul_f32_e32 v46, 0x3fb8aa3b, v44
	v_fma_f32 v47, v44, s13, -v46
	v_rndne_f32_e32 v48, v46
	v_fmac_f32_e32 v47, 0x32a5705f, v44
	v_sub_f32_e32 v46, v46, v48
	v_add_f32_e32 v46, v46, v47
	v_exp_f32_e32 v46, v46
	v_cvt_i32_f32_e32 v47, v48
	v_cndmask_b32_e32 v45, 0, v45, vcc
	v_cmp_nlt_f32_e32 vcc, s24, v43
	v_cndmask_b32_e32 v43, v29, v45, vcc
	v_ldexp_f32 v46, v46, v47
	v_cmp_ngt_f32_e32 vcc, s19, v44
	v_cndmask_b32_e32 v46, 0, v46, vcc
	v_cmp_nlt_f32_e32 vcc, s24, v44
	v_cndmask_b32_e32 v44, v29, v46, vcc
	v_mul_f32_e32 v46, 0x3fb8aa3b, v39
	v_fma_f32 v47, v39, s13, -v46
	v_rndne_f32_e32 v48, v46
	v_fmac_f32_e32 v47, 0x32a5705f, v39
	v_sub_f32_e32 v46, v46, v48
	v_add_f32_e32 v46, v46, v47
	v_exp_f32_e32 v46, v46
	v_cvt_i32_f32_e32 v47, v48
	v_cmp_ngt_f32_e32 vcc, s19, v39
	v_cvt_f16_f32_e32 v45, v43
	v_add_f32_e32 v43, v43, v44
	v_ldexp_f32 v46, v46, v47
	v_cndmask_b32_e32 v46, 0, v46, vcc
	v_cmp_nlt_f32_e32 vcc, s24, v39
	v_cndmask_b32_e32 v39, v29, v46, vcc
	v_cvt_f16_f32_e32 v52, v39
	v_cvt_f16_f32_e32 v44, v44
	v_fmac_f32_e32 v43, v38, v39
	v_add_co_u32_e32 v38, vcc, s8, v23
	v_pk_mul_f16 v56, v52, v34 op_sel_hi:[0,1]
	v_mov_b32_e32 v34, s9
	ds_write_b16 v19, v45
	ds_write_b16 v19, v44 offset:64
	v_addc_co_u32_e32 v39, vcc, v24, v34, vcc
	v_pk_mul_f16 v53, v52, v37 op_sel_hi:[0,1]
	v_pk_mul_f16 v54, v52, v36 op_sel_hi:[0,1]
	;; [unrolled: 1-line block ×3, first 2 shown]
	global_load_dwordx4 v[34:37], v[38:39], off
	v_pk_mul_f16 v33, v52, v33 op_sel_hi:[0,1]
	v_pk_mul_f16 v30, v52, v30 op_sel_hi:[0,1]
	s_or_b32 s8, s6, 8
	s_mul_hi_i32 s9, s8, s15
	s_mul_i32 s8, s8, s15
	s_lshl_b64 s[8:9], s[8:9], 2
	s_waitcnt vmcnt(0)
	ds_write_b128 v20, v[34:37]
	global_load_dwordx4 v[34:37], v[38:39], off offset:512
	s_waitcnt vmcnt(0)
	ds_write_b128 v21, v[34:37]
	s_waitcnt lgkmcnt(0)
	s_barrier
	ds_read2_b64 v[34:37], v22 offset1:32
	ds_read2_b64 v[44:47], v22 offset0:64 offset1:96
	ds_read_b128 v[48:51], v18
	s_waitcnt lgkmcnt(0)
	v_pk_mul_f16 v34, v34, v48 op_sel_hi:[1,0]
	v_pk_fma_f16 v38, v32, v52, v34 op_sel_hi:[1,0,1]
	v_pk_mul_f16 v32, v35, v48 op_sel_hi:[1,0]
	v_pk_fma_f16 v39, v31, v52, v32 op_sel_hi:[1,0,1]
	v_pk_fma_f16 v52, v36, v48, v53 op_sel_hi:[1,0,1]
	;; [unrolled: 1-line block ×5, first 2 shown]
	ds_read2_b64 v[30:33], v22 offset0:128 offset1:160
	ds_read2_b64 v[34:37], v22 offset0:192 offset1:224
	v_pk_fma_f16 v44, v44, v48, v55 op_sel_hi:[1,0,1]
	v_pk_fma_f16 v45, v45, v48, v56 op_sel_hi:[1,0,1]
	s_waitcnt lgkmcnt(1)
	v_pk_fma_f16 v54, v30, v48, v38 op_sel:[0,1,0]
	v_add_u32_e32 v30, 0x800, v22
	v_pk_fma_f16 v31, v31, v48, v39 op_sel:[0,1,0]
	v_pk_fma_f16 v52, v32, v48, v52 op_sel:[0,1,0]
	v_pk_fma_f16 v53, v33, v48, v53 op_sel:[0,1,0]
	s_waitcnt lgkmcnt(0)
	v_pk_fma_f16 v44, v34, v48, v44 op_sel:[0,1,0]
	v_pk_fma_f16 v45, v35, v48, v45 op_sel:[0,1,0]
	v_pk_fma_f16 v46, v36, v48, v46 op_sel:[0,1,0]
	v_pk_fma_f16 v47, v37, v48, v47 op_sel:[0,1,0]
	ds_read2_b64 v[32:35], v30 offset1:32
	ds_read2_b64 v[36:39], v30 offset0:64 offset1:96
	s_waitcnt lgkmcnt(1)
	v_pk_fma_f16 v48, v32, v49, v54 op_sel_hi:[1,0,1]
	v_pk_fma_f16 v31, v33, v49, v31 op_sel_hi:[1,0,1]
	v_pk_fma_f16 v52, v34, v49, v52 op_sel_hi:[1,0,1]
	v_pk_fma_f16 v53, v35, v49, v53 op_sel_hi:[1,0,1]
	s_waitcnt lgkmcnt(0)
	v_pk_fma_f16 v44, v36, v49, v44 op_sel_hi:[1,0,1]
	v_pk_fma_f16 v45, v37, v49, v45 op_sel_hi:[1,0,1]
	v_pk_fma_f16 v46, v38, v49, v46 op_sel_hi:[1,0,1]
	v_pk_fma_f16 v47, v39, v49, v47 op_sel_hi:[1,0,1]
	ds_read2_b64 v[32:35], v30 offset0:128 offset1:160
	ds_read2_b64 v[36:39], v30 offset0:192 offset1:224
	s_waitcnt lgkmcnt(1)
	v_pk_fma_f16 v54, v33, v49, v31 op_sel:[0,1,0]
	v_add_u32_e32 v31, 0x1000, v22
	v_pk_fma_f16 v48, v32, v49, v48 op_sel:[0,1,0]
	v_pk_fma_f16 v52, v34, v49, v52 op_sel:[0,1,0]
	v_pk_fma_f16 v53, v35, v49, v53 op_sel:[0,1,0]
	s_waitcnt lgkmcnt(0)
	v_pk_fma_f16 v44, v36, v49, v44 op_sel:[0,1,0]
	v_pk_fma_f16 v45, v37, v49, v45 op_sel:[0,1,0]
	v_pk_fma_f16 v46, v38, v49, v46 op_sel:[0,1,0]
	v_pk_fma_f16 v47, v39, v49, v47 op_sel:[0,1,0]
	ds_read2_b64 v[32:35], v31 offset1:32
	ds_read2_b64 v[36:39], v31 offset0:64 offset1:96
	s_waitcnt lgkmcnt(1)
	v_pk_fma_f16 v48, v32, v50, v48 op_sel_hi:[1,0,1]
	v_pk_fma_f16 v49, v33, v50, v54 op_sel_hi:[1,0,1]
	v_pk_fma_f16 v52, v34, v50, v52 op_sel_hi:[1,0,1]
	v_pk_fma_f16 v53, v35, v50, v53 op_sel_hi:[1,0,1]
	s_waitcnt lgkmcnt(0)
	v_pk_fma_f16 v44, v36, v50, v44 op_sel_hi:[1,0,1]
	v_pk_fma_f16 v45, v37, v50, v45 op_sel_hi:[1,0,1]
	v_pk_fma_f16 v46, v38, v50, v46 op_sel_hi:[1,0,1]
	v_pk_fma_f16 v47, v39, v50, v47 op_sel_hi:[1,0,1]
	ds_read2_b64 v[32:35], v31 offset0:128 offset1:160
	ds_read2_b64 v[36:39], v31 offset0:192 offset1:224
	s_waitcnt lgkmcnt(1)
	v_pk_fma_f16 v48, v32, v50, v48 op_sel:[0,1,0]
	v_add_u32_e32 v32, 0x1800, v22
	v_pk_fma_f16 v33, v33, v50, v49 op_sel:[0,1,0]
	v_pk_fma_f16 v49, v34, v50, v52 op_sel:[0,1,0]
	v_pk_fma_f16 v52, v35, v50, v53 op_sel:[0,1,0]
	s_waitcnt lgkmcnt(0)
	v_pk_fma_f16 v53, v36, v50, v44 op_sel:[0,1,0]
	v_pk_fma_f16 v54, v37, v50, v45 op_sel:[0,1,0]
	v_pk_fma_f16 v38, v38, v50, v46 op_sel:[0,1,0]
	v_pk_fma_f16 v39, v39, v50, v47 op_sel:[0,1,0]
	ds_read2_b64 v[34:37], v32 offset1:32
	ds_read2_b64 v[44:47], v32 offset0:64 offset1:96
	s_waitcnt lgkmcnt(1)
	v_pk_fma_f16 v48, v34, v51, v48 op_sel_hi:[1,0,1]
	v_pk_fma_f16 v33, v35, v51, v33 op_sel_hi:[1,0,1]
	v_pk_fma_f16 v49, v36, v51, v49 op_sel_hi:[1,0,1]
	v_pk_fma_f16 v50, v37, v51, v52 op_sel_hi:[1,0,1]
	s_waitcnt lgkmcnt(0)
	v_pk_fma_f16 v52, v44, v51, v53 op_sel_hi:[1,0,1]
	v_pk_fma_f16 v53, v45, v51, v54 op_sel_hi:[1,0,1]
	v_pk_fma_f16 v38, v46, v51, v38 op_sel_hi:[1,0,1]
	v_pk_fma_f16 v39, v47, v51, v39 op_sel_hi:[1,0,1]
	ds_read2_b64 v[34:37], v32 offset0:128 offset1:160
	ds_read2_b64 v[44:47], v32 offset0:192 offset1:224
	s_waitcnt lgkmcnt(0)
	s_barrier
	v_pk_fma_f16 v54, v34, v51, v48 op_sel:[0,1,0]
	v_pk_fma_f16 v57, v46, v51, v38 op_sel:[0,1,0]
	v_add_co_u32_e32 v38, vcc, s8, v23
	v_mov_b32_e32 v34, s9
	v_pk_fma_f16 v58, v47, v51, v39 op_sel:[0,1,0]
	v_addc_co_u32_e32 v39, vcc, v24, v34, vcc
	v_pk_fma_f16 v33, v35, v51, v33 op_sel:[0,1,0]
	v_pk_fma_f16 v55, v36, v51, v49 op_sel:[0,1,0]
	;; [unrolled: 1-line block ×3, first 2 shown]
	global_load_dwordx4 v[34:37], v[38:39], off
	v_pk_fma_f16 v52, v44, v51, v52 op_sel:[0,1,0]
	v_pk_fma_f16 v53, v45, v51, v53 op_sel:[0,1,0]
	s_or_b32 s8, s6, 16
	s_mul_hi_i32 s9, s8, s15
	s_mul_i32 s8, s8, s15
	s_lshl_b64 s[8:9], s[8:9], 2
	s_waitcnt vmcnt(0)
	ds_write_b128 v20, v[34:37]
	global_load_dwordx4 v[34:37], v[38:39], off offset:512
	s_waitcnt vmcnt(0)
	ds_write_b128 v21, v[34:37]
	s_waitcnt lgkmcnt(0)
	s_barrier
	ds_read2_b64 v[34:37], v22 offset1:32
	ds_read2_b64 v[44:47], v22 offset0:64 offset1:96
	ds_read_b128 v[48:51], v18 offset:16
	s_waitcnt lgkmcnt(0)
	v_pk_fma_f16 v38, v34, v48, v54 op_sel_hi:[1,0,1]
	v_pk_fma_f16 v33, v35, v48, v33 op_sel_hi:[1,0,1]
	;; [unrolled: 1-line block ×8, first 2 shown]
	ds_read2_b64 v[34:37], v22 offset0:128 offset1:160
	ds_read2_b64 v[44:47], v22 offset0:192 offset1:224
	s_waitcnt lgkmcnt(1)
	v_pk_fma_f16 v38, v34, v48, v38 op_sel:[0,1,0]
	v_pk_fma_f16 v33, v35, v48, v33 op_sel:[0,1,0]
	v_pk_fma_f16 v39, v36, v48, v39 op_sel:[0,1,0]
	v_pk_fma_f16 v54, v37, v48, v54 op_sel:[0,1,0]
	s_waitcnt lgkmcnt(0)
	v_pk_fma_f16 v52, v44, v48, v52 op_sel:[0,1,0]
	v_pk_fma_f16 v53, v45, v48, v53 op_sel:[0,1,0]
	v_pk_fma_f16 v55, v46, v48, v55 op_sel:[0,1,0]
	v_pk_fma_f16 v48, v47, v48, v56 op_sel:[0,1,0]
	ds_read2_b64 v[34:37], v30 offset1:32
	ds_read2_b64 v[44:47], v30 offset0:64 offset1:96
	s_waitcnt lgkmcnt(1)
	v_pk_fma_f16 v38, v34, v49, v38 op_sel_hi:[1,0,1]
	v_pk_fma_f16 v33, v35, v49, v33 op_sel_hi:[1,0,1]
	v_pk_fma_f16 v39, v36, v49, v39 op_sel_hi:[1,0,1]
	v_pk_fma_f16 v54, v37, v49, v54 op_sel_hi:[1,0,1]
	s_waitcnt lgkmcnt(0)
	v_pk_fma_f16 v52, v44, v49, v52 op_sel_hi:[1,0,1]
	v_pk_fma_f16 v53, v45, v49, v53 op_sel_hi:[1,0,1]
	v_pk_fma_f16 v55, v46, v49, v55 op_sel_hi:[1,0,1]
	v_pk_fma_f16 v48, v47, v49, v48 op_sel_hi:[1,0,1]
	ds_read2_b64 v[34:37], v30 offset0:128 offset1:160
	ds_read2_b64 v[44:47], v30 offset0:192 offset1:224
	s_waitcnt lgkmcnt(1)
	v_pk_fma_f16 v38, v34, v49, v38 op_sel:[0,1,0]
	v_pk_fma_f16 v33, v35, v49, v33 op_sel:[0,1,0]
	v_pk_fma_f16 v39, v36, v49, v39 op_sel:[0,1,0]
	v_pk_fma_f16 v54, v37, v49, v54 op_sel:[0,1,0]
	s_waitcnt lgkmcnt(0)
	v_pk_fma_f16 v52, v44, v49, v52 op_sel:[0,1,0]
	v_pk_fma_f16 v53, v45, v49, v53 op_sel:[0,1,0]
	v_pk_fma_f16 v55, v46, v49, v55 op_sel:[0,1,0]
	v_pk_fma_f16 v48, v47, v49, v48 op_sel:[0,1,0]
	ds_read2_b64 v[34:37], v31 offset1:32
	ds_read2_b64 v[44:47], v31 offset0:64 offset1:96
	s_waitcnt lgkmcnt(1)
	v_pk_fma_f16 v38, v34, v50, v38 op_sel_hi:[1,0,1]
	v_pk_fma_f16 v33, v35, v50, v33 op_sel_hi:[1,0,1]
	v_pk_fma_f16 v39, v36, v50, v39 op_sel_hi:[1,0,1]
	v_pk_fma_f16 v49, v37, v50, v54 op_sel_hi:[1,0,1]
	s_waitcnt lgkmcnt(0)
	v_pk_fma_f16 v52, v44, v50, v52 op_sel_hi:[1,0,1]
	v_pk_fma_f16 v53, v45, v50, v53 op_sel_hi:[1,0,1]
	v_pk_fma_f16 v54, v46, v50, v55 op_sel_hi:[1,0,1]
	v_pk_fma_f16 v48, v47, v50, v48 op_sel_hi:[1,0,1]
	;; [unrolled: 24-line block ×3, first 2 shown]
	ds_read2_b64 v[34:37], v32 offset0:128 offset1:160
	ds_read2_b64 v[44:47], v32 offset0:192 offset1:224
	s_waitcnt lgkmcnt(0)
	s_barrier
	v_pk_fma_f16 v54, v34, v51, v38 op_sel:[0,1,0]
	v_add_co_u32_e32 v38, vcc, s8, v23
	v_mov_b32_e32 v34, s9
	v_pk_fma_f16 v55, v36, v51, v39 op_sel:[0,1,0]
	v_addc_co_u32_e32 v39, vcc, v24, v34, vcc
	v_pk_fma_f16 v33, v35, v51, v33 op_sel:[0,1,0]
	v_pk_fma_f16 v56, v37, v51, v49 op_sel:[0,1,0]
	global_load_dwordx4 v[34:37], v[38:39], off
	v_pk_fma_f16 v57, v44, v51, v50 op_sel:[0,1,0]
	v_pk_fma_f16 v52, v45, v51, v52 op_sel:[0,1,0]
	;; [unrolled: 1-line block ×4, first 2 shown]
	s_or_b32 s8, s6, 24
	s_mul_hi_i32 s9, s8, s15
	s_mul_i32 s8, s8, s15
	s_lshl_b64 s[8:9], s[8:9], 2
	s_waitcnt vmcnt(0)
	ds_write_b128 v20, v[34:37]
	global_load_dwordx4 v[34:37], v[38:39], off offset:512
	s_waitcnt vmcnt(0)
	ds_write_b128 v21, v[34:37]
	s_waitcnt lgkmcnt(0)
	s_barrier
	ds_read2_b64 v[34:37], v22 offset1:32
	ds_read2_b64 v[44:47], v22 offset0:64 offset1:96
	ds_read_b128 v[48:51], v18 offset:32
	s_waitcnt lgkmcnt(0)
	v_pk_fma_f16 v38, v34, v48, v54 op_sel_hi:[1,0,1]
	v_pk_fma_f16 v33, v35, v48, v33 op_sel_hi:[1,0,1]
	;; [unrolled: 1-line block ×8, first 2 shown]
	ds_read2_b64 v[34:37], v22 offset0:128 offset1:160
	ds_read2_b64 v[44:47], v22 offset0:192 offset1:224
	s_waitcnt lgkmcnt(1)
	v_pk_fma_f16 v38, v34, v48, v38 op_sel:[0,1,0]
	v_pk_fma_f16 v33, v35, v48, v33 op_sel:[0,1,0]
	v_pk_fma_f16 v39, v36, v48, v39 op_sel:[0,1,0]
	v_pk_fma_f16 v54, v37, v48, v54 op_sel:[0,1,0]
	s_waitcnt lgkmcnt(0)
	v_pk_fma_f16 v55, v44, v48, v55 op_sel:[0,1,0]
	v_pk_fma_f16 v52, v45, v48, v52 op_sel:[0,1,0]
	v_pk_fma_f16 v53, v46, v48, v53 op_sel:[0,1,0]
	v_pk_fma_f16 v48, v47, v48, v56 op_sel:[0,1,0]
	ds_read2_b64 v[34:37], v30 offset1:32
	ds_read2_b64 v[44:47], v30 offset0:64 offset1:96
	s_waitcnt lgkmcnt(1)
	v_pk_fma_f16 v38, v34, v49, v38 op_sel_hi:[1,0,1]
	v_pk_fma_f16 v33, v35, v49, v33 op_sel_hi:[1,0,1]
	v_pk_fma_f16 v39, v36, v49, v39 op_sel_hi:[1,0,1]
	v_pk_fma_f16 v54, v37, v49, v54 op_sel_hi:[1,0,1]
	s_waitcnt lgkmcnt(0)
	v_pk_fma_f16 v55, v44, v49, v55 op_sel_hi:[1,0,1]
	v_pk_fma_f16 v52, v45, v49, v52 op_sel_hi:[1,0,1]
	v_pk_fma_f16 v53, v46, v49, v53 op_sel_hi:[1,0,1]
	v_pk_fma_f16 v48, v47, v49, v48 op_sel_hi:[1,0,1]
	ds_read2_b64 v[34:37], v30 offset0:128 offset1:160
	ds_read2_b64 v[44:47], v30 offset0:192 offset1:224
	s_waitcnt lgkmcnt(1)
	v_pk_fma_f16 v38, v34, v49, v38 op_sel:[0,1,0]
	v_pk_fma_f16 v33, v35, v49, v33 op_sel:[0,1,0]
	v_pk_fma_f16 v39, v36, v49, v39 op_sel:[0,1,0]
	v_pk_fma_f16 v54, v37, v49, v54 op_sel:[0,1,0]
	s_waitcnt lgkmcnt(0)
	v_pk_fma_f16 v55, v44, v49, v55 op_sel:[0,1,0]
	v_pk_fma_f16 v52, v45, v49, v52 op_sel:[0,1,0]
	v_pk_fma_f16 v53, v46, v49, v53 op_sel:[0,1,0]
	v_pk_fma_f16 v48, v47, v49, v48 op_sel:[0,1,0]
	ds_read2_b64 v[34:37], v31 offset1:32
	ds_read2_b64 v[44:47], v31 offset0:64 offset1:96
	s_waitcnt lgkmcnt(1)
	v_pk_fma_f16 v38, v34, v50, v38 op_sel_hi:[1,0,1]
	v_pk_fma_f16 v33, v35, v50, v33 op_sel_hi:[1,0,1]
	v_pk_fma_f16 v39, v36, v50, v39 op_sel_hi:[1,0,1]
	v_pk_fma_f16 v49, v37, v50, v54 op_sel_hi:[1,0,1]
	s_waitcnt lgkmcnt(0)
	v_pk_fma_f16 v54, v44, v50, v55 op_sel_hi:[1,0,1]
	v_pk_fma_f16 v52, v45, v50, v52 op_sel_hi:[1,0,1]
	v_pk_fma_f16 v53, v46, v50, v53 op_sel_hi:[1,0,1]
	v_pk_fma_f16 v48, v47, v50, v48 op_sel_hi:[1,0,1]
	;; [unrolled: 24-line block ×3, first 2 shown]
	ds_read2_b64 v[34:37], v32 offset0:128 offset1:160
	ds_read2_b64 v[44:47], v32 offset0:192 offset1:224
	s_waitcnt lgkmcnt(0)
	s_barrier
	v_pk_fma_f16 v54, v34, v51, v38 op_sel:[0,1,0]
	v_add_co_u32_e32 v38, vcc, s8, v23
	v_mov_b32_e32 v34, s9
	v_pk_fma_f16 v55, v36, v51, v39 op_sel:[0,1,0]
	v_addc_co_u32_e32 v39, vcc, v24, v34, vcc
	v_pk_fma_f16 v33, v35, v51, v33 op_sel:[0,1,0]
	v_pk_fma_f16 v56, v37, v51, v49 op_sel:[0,1,0]
	global_load_dwordx4 v[34:37], v[38:39], off
	v_pk_fma_f16 v57, v44, v51, v50 op_sel:[0,1,0]
	v_pk_fma_f16 v52, v45, v51, v52 op_sel:[0,1,0]
	;; [unrolled: 1-line block ×4, first 2 shown]
	s_or_b32 s8, s6, 32
	s_mul_hi_i32 s9, s8, s15
	s_mul_i32 s8, s8, s15
	s_lshl_b64 s[8:9], s[8:9], 2
	s_waitcnt vmcnt(0)
	ds_write_b128 v20, v[34:37]
	global_load_dwordx4 v[34:37], v[38:39], off offset:512
	s_waitcnt vmcnt(0)
	ds_write_b128 v21, v[34:37]
	s_waitcnt lgkmcnt(0)
	s_barrier
	ds_read2_b64 v[34:37], v22 offset1:32
	ds_read2_b64 v[44:47], v22 offset0:64 offset1:96
	ds_read_b128 v[48:51], v18 offset:48
	s_waitcnt lgkmcnt(0)
	v_pk_fma_f16 v38, v34, v48, v54 op_sel_hi:[1,0,1]
	v_pk_fma_f16 v33, v35, v48, v33 op_sel_hi:[1,0,1]
	;; [unrolled: 1-line block ×8, first 2 shown]
	ds_read2_b64 v[34:37], v22 offset0:128 offset1:160
	ds_read2_b64 v[44:47], v22 offset0:192 offset1:224
	s_waitcnt lgkmcnt(1)
	v_pk_fma_f16 v38, v34, v48, v38 op_sel:[0,1,0]
	v_pk_fma_f16 v33, v35, v48, v33 op_sel:[0,1,0]
	v_pk_fma_f16 v39, v36, v48, v39 op_sel:[0,1,0]
	v_pk_fma_f16 v54, v37, v48, v54 op_sel:[0,1,0]
	s_waitcnt lgkmcnt(0)
	v_pk_fma_f16 v55, v44, v48, v55 op_sel:[0,1,0]
	v_pk_fma_f16 v52, v45, v48, v52 op_sel:[0,1,0]
	v_pk_fma_f16 v53, v46, v48, v53 op_sel:[0,1,0]
	v_pk_fma_f16 v48, v47, v48, v56 op_sel:[0,1,0]
	ds_read2_b64 v[34:37], v30 offset1:32
	ds_read2_b64 v[44:47], v30 offset0:64 offset1:96
	s_waitcnt lgkmcnt(1)
	v_pk_fma_f16 v38, v34, v49, v38 op_sel_hi:[1,0,1]
	v_pk_fma_f16 v33, v35, v49, v33 op_sel_hi:[1,0,1]
	v_pk_fma_f16 v39, v36, v49, v39 op_sel_hi:[1,0,1]
	v_pk_fma_f16 v54, v37, v49, v54 op_sel_hi:[1,0,1]
	s_waitcnt lgkmcnt(0)
	v_pk_fma_f16 v55, v44, v49, v55 op_sel_hi:[1,0,1]
	v_pk_fma_f16 v52, v45, v49, v52 op_sel_hi:[1,0,1]
	v_pk_fma_f16 v53, v46, v49, v53 op_sel_hi:[1,0,1]
	v_pk_fma_f16 v48, v47, v49, v48 op_sel_hi:[1,0,1]
	ds_read2_b64 v[34:37], v30 offset0:128 offset1:160
	ds_read2_b64 v[44:47], v30 offset0:192 offset1:224
	s_waitcnt lgkmcnt(1)
	v_pk_fma_f16 v38, v34, v49, v38 op_sel:[0,1,0]
	v_pk_fma_f16 v33, v35, v49, v33 op_sel:[0,1,0]
	v_pk_fma_f16 v39, v36, v49, v39 op_sel:[0,1,0]
	v_pk_fma_f16 v54, v37, v49, v54 op_sel:[0,1,0]
	s_waitcnt lgkmcnt(0)
	v_pk_fma_f16 v55, v44, v49, v55 op_sel:[0,1,0]
	v_pk_fma_f16 v52, v45, v49, v52 op_sel:[0,1,0]
	v_pk_fma_f16 v53, v46, v49, v53 op_sel:[0,1,0]
	v_pk_fma_f16 v48, v47, v49, v48 op_sel:[0,1,0]
	ds_read2_b64 v[34:37], v31 offset1:32
	ds_read2_b64 v[44:47], v31 offset0:64 offset1:96
	s_waitcnt lgkmcnt(1)
	v_pk_fma_f16 v38, v34, v50, v38 op_sel_hi:[1,0,1]
	v_pk_fma_f16 v33, v35, v50, v33 op_sel_hi:[1,0,1]
	v_pk_fma_f16 v39, v36, v50, v39 op_sel_hi:[1,0,1]
	v_pk_fma_f16 v49, v37, v50, v54 op_sel_hi:[1,0,1]
	s_waitcnt lgkmcnt(0)
	v_pk_fma_f16 v54, v44, v50, v55 op_sel_hi:[1,0,1]
	v_pk_fma_f16 v52, v45, v50, v52 op_sel_hi:[1,0,1]
	v_pk_fma_f16 v53, v46, v50, v53 op_sel_hi:[1,0,1]
	v_pk_fma_f16 v48, v47, v50, v48 op_sel_hi:[1,0,1]
	ds_read2_b64 v[34:37], v31 offset0:128 offset1:160
	ds_read2_b64 v[44:47], v31 offset0:192 offset1:224
	s_waitcnt lgkmcnt(1)
	v_pk_fma_f16 v38, v34, v50, v38 op_sel:[0,1,0]
	v_pk_fma_f16 v33, v35, v50, v33 op_sel:[0,1,0]
	v_pk_fma_f16 v39, v36, v50, v39 op_sel:[0,1,0]
	v_pk_fma_f16 v49, v37, v50, v49 op_sel:[0,1,0]
	s_waitcnt lgkmcnt(0)
	v_pk_fma_f16 v54, v44, v50, v54 op_sel:[0,1,0]
	v_pk_fma_f16 v52, v45, v50, v52 op_sel:[0,1,0]
	v_pk_fma_f16 v53, v46, v50, v53 op_sel:[0,1,0]
	v_pk_fma_f16 v48, v47, v50, v48 op_sel:[0,1,0]
	ds_read2_b64 v[34:37], v32 offset1:32
	ds_read2_b64 v[44:47], v32 offset0:64 offset1:96
	s_waitcnt lgkmcnt(1)
	v_pk_fma_f16 v38, v34, v51, v38 op_sel_hi:[1,0,1]
	v_pk_fma_f16 v33, v35, v51, v33 op_sel_hi:[1,0,1]
	v_pk_fma_f16 v39, v36, v51, v39 op_sel_hi:[1,0,1]
	v_pk_fma_f16 v49, v37, v51, v49 op_sel_hi:[1,0,1]
	s_waitcnt lgkmcnt(0)
	v_pk_fma_f16 v50, v44, v51, v54 op_sel_hi:[1,0,1]
	v_pk_fma_f16 v52, v45, v51, v52 op_sel_hi:[1,0,1]
	v_pk_fma_f16 v53, v46, v51, v53 op_sel_hi:[1,0,1]
	v_pk_fma_f16 v48, v47, v51, v48 op_sel_hi:[1,0,1]
	ds_read2_b64 v[34:37], v32 offset0:128 offset1:160
	ds_read2_b64 v[44:47], v32 offset0:192 offset1:224
	s_waitcnt lgkmcnt(0)
	s_barrier
	v_pk_fma_f16 v54, v34, v51, v38 op_sel:[0,1,0]
	v_add_co_u32_e32 v38, vcc, s8, v23
	v_mov_b32_e32 v34, s9
	v_pk_fma_f16 v55, v36, v51, v39 op_sel:[0,1,0]
	v_addc_co_u32_e32 v39, vcc, v24, v34, vcc
	v_pk_fma_f16 v33, v35, v51, v33 op_sel:[0,1,0]
	v_pk_fma_f16 v56, v37, v51, v49 op_sel:[0,1,0]
	global_load_dwordx4 v[34:37], v[38:39], off
	v_pk_fma_f16 v57, v44, v51, v50 op_sel:[0,1,0]
	v_pk_fma_f16 v52, v45, v51, v52 op_sel:[0,1,0]
	;; [unrolled: 1-line block ×4, first 2 shown]
	s_or_b32 s8, s6, 40
	s_mul_hi_i32 s9, s8, s15
	s_mul_i32 s8, s8, s15
	s_lshl_b64 s[8:9], s[8:9], 2
	s_waitcnt vmcnt(0)
	ds_write_b128 v20, v[34:37]
	global_load_dwordx4 v[34:37], v[38:39], off offset:512
	s_waitcnt vmcnt(0)
	ds_write_b128 v21, v[34:37]
	s_waitcnt lgkmcnt(0)
	s_barrier
	ds_read2_b64 v[34:37], v22 offset1:32
	ds_read2_b64 v[44:47], v22 offset0:64 offset1:96
	ds_read_b128 v[48:51], v18 offset:64
	s_waitcnt lgkmcnt(0)
	v_pk_fma_f16 v38, v34, v48, v54 op_sel_hi:[1,0,1]
	v_pk_fma_f16 v33, v35, v48, v33 op_sel_hi:[1,0,1]
	;; [unrolled: 1-line block ×8, first 2 shown]
	ds_read2_b64 v[34:37], v22 offset0:128 offset1:160
	ds_read2_b64 v[44:47], v22 offset0:192 offset1:224
	s_waitcnt lgkmcnt(1)
	v_pk_fma_f16 v38, v34, v48, v38 op_sel:[0,1,0]
	v_pk_fma_f16 v33, v35, v48, v33 op_sel:[0,1,0]
	v_pk_fma_f16 v39, v36, v48, v39 op_sel:[0,1,0]
	v_pk_fma_f16 v54, v37, v48, v54 op_sel:[0,1,0]
	s_waitcnt lgkmcnt(0)
	v_pk_fma_f16 v55, v44, v48, v55 op_sel:[0,1,0]
	v_pk_fma_f16 v52, v45, v48, v52 op_sel:[0,1,0]
	v_pk_fma_f16 v53, v46, v48, v53 op_sel:[0,1,0]
	v_pk_fma_f16 v48, v47, v48, v56 op_sel:[0,1,0]
	ds_read2_b64 v[34:37], v30 offset1:32
	ds_read2_b64 v[44:47], v30 offset0:64 offset1:96
	s_waitcnt lgkmcnt(1)
	v_pk_fma_f16 v38, v34, v49, v38 op_sel_hi:[1,0,1]
	v_pk_fma_f16 v33, v35, v49, v33 op_sel_hi:[1,0,1]
	v_pk_fma_f16 v39, v36, v49, v39 op_sel_hi:[1,0,1]
	v_pk_fma_f16 v54, v37, v49, v54 op_sel_hi:[1,0,1]
	s_waitcnt lgkmcnt(0)
	v_pk_fma_f16 v55, v44, v49, v55 op_sel_hi:[1,0,1]
	v_pk_fma_f16 v52, v45, v49, v52 op_sel_hi:[1,0,1]
	v_pk_fma_f16 v53, v46, v49, v53 op_sel_hi:[1,0,1]
	v_pk_fma_f16 v48, v47, v49, v48 op_sel_hi:[1,0,1]
	ds_read2_b64 v[34:37], v30 offset0:128 offset1:160
	ds_read2_b64 v[44:47], v30 offset0:192 offset1:224
	s_waitcnt lgkmcnt(1)
	v_pk_fma_f16 v38, v34, v49, v38 op_sel:[0,1,0]
	v_pk_fma_f16 v33, v35, v49, v33 op_sel:[0,1,0]
	v_pk_fma_f16 v39, v36, v49, v39 op_sel:[0,1,0]
	v_pk_fma_f16 v54, v37, v49, v54 op_sel:[0,1,0]
	s_waitcnt lgkmcnt(0)
	v_pk_fma_f16 v55, v44, v49, v55 op_sel:[0,1,0]
	v_pk_fma_f16 v52, v45, v49, v52 op_sel:[0,1,0]
	v_pk_fma_f16 v53, v46, v49, v53 op_sel:[0,1,0]
	v_pk_fma_f16 v48, v47, v49, v48 op_sel:[0,1,0]
	ds_read2_b64 v[34:37], v31 offset1:32
	ds_read2_b64 v[44:47], v31 offset0:64 offset1:96
	s_waitcnt lgkmcnt(1)
	v_pk_fma_f16 v38, v34, v50, v38 op_sel_hi:[1,0,1]
	v_pk_fma_f16 v33, v35, v50, v33 op_sel_hi:[1,0,1]
	v_pk_fma_f16 v39, v36, v50, v39 op_sel_hi:[1,0,1]
	v_pk_fma_f16 v49, v37, v50, v54 op_sel_hi:[1,0,1]
	s_waitcnt lgkmcnt(0)
	v_pk_fma_f16 v54, v44, v50, v55 op_sel_hi:[1,0,1]
	v_pk_fma_f16 v52, v45, v50, v52 op_sel_hi:[1,0,1]
	v_pk_fma_f16 v53, v46, v50, v53 op_sel_hi:[1,0,1]
	v_pk_fma_f16 v48, v47, v50, v48 op_sel_hi:[1,0,1]
	;; [unrolled: 24-line block ×3, first 2 shown]
	ds_read2_b64 v[34:37], v32 offset0:128 offset1:160
	ds_read2_b64 v[44:47], v32 offset0:192 offset1:224
	s_waitcnt lgkmcnt(0)
	s_barrier
	v_pk_fma_f16 v54, v34, v51, v38 op_sel:[0,1,0]
	v_add_co_u32_e32 v38, vcc, s8, v23
	v_mov_b32_e32 v34, s9
	v_pk_fma_f16 v55, v36, v51, v39 op_sel:[0,1,0]
	v_addc_co_u32_e32 v39, vcc, v24, v34, vcc
	v_pk_fma_f16 v33, v35, v51, v33 op_sel:[0,1,0]
	v_pk_fma_f16 v56, v37, v51, v49 op_sel:[0,1,0]
	global_load_dwordx4 v[34:37], v[38:39], off
	v_pk_fma_f16 v57, v44, v51, v50 op_sel:[0,1,0]
	v_pk_fma_f16 v52, v45, v51, v52 op_sel:[0,1,0]
	;; [unrolled: 1-line block ×4, first 2 shown]
	s_or_b32 s8, s6, 48
	s_mul_hi_i32 s9, s8, s15
	s_mul_i32 s8, s8, s15
	s_lshl_b64 s[8:9], s[8:9], 2
	s_waitcnt vmcnt(0)
	ds_write_b128 v20, v[34:37]
	global_load_dwordx4 v[34:37], v[38:39], off offset:512
	s_waitcnt vmcnt(0)
	ds_write_b128 v21, v[34:37]
	s_waitcnt lgkmcnt(0)
	s_barrier
	ds_read2_b64 v[34:37], v22 offset1:32
	ds_read2_b64 v[44:47], v22 offset0:64 offset1:96
	ds_read_b128 v[48:51], v18 offset:80
	s_waitcnt lgkmcnt(0)
	v_pk_fma_f16 v38, v34, v48, v54 op_sel_hi:[1,0,1]
	v_pk_fma_f16 v33, v35, v48, v33 op_sel_hi:[1,0,1]
	;; [unrolled: 1-line block ×8, first 2 shown]
	ds_read2_b64 v[34:37], v22 offset0:128 offset1:160
	ds_read2_b64 v[44:47], v22 offset0:192 offset1:224
	s_waitcnt lgkmcnt(1)
	v_pk_fma_f16 v38, v34, v48, v38 op_sel:[0,1,0]
	v_pk_fma_f16 v33, v35, v48, v33 op_sel:[0,1,0]
	v_pk_fma_f16 v39, v36, v48, v39 op_sel:[0,1,0]
	v_pk_fma_f16 v54, v37, v48, v54 op_sel:[0,1,0]
	s_waitcnt lgkmcnt(0)
	v_pk_fma_f16 v55, v44, v48, v55 op_sel:[0,1,0]
	v_pk_fma_f16 v52, v45, v48, v52 op_sel:[0,1,0]
	v_pk_fma_f16 v53, v46, v48, v53 op_sel:[0,1,0]
	v_pk_fma_f16 v48, v47, v48, v56 op_sel:[0,1,0]
	ds_read2_b64 v[34:37], v30 offset1:32
	ds_read2_b64 v[44:47], v30 offset0:64 offset1:96
	s_waitcnt lgkmcnt(1)
	v_pk_fma_f16 v38, v34, v49, v38 op_sel_hi:[1,0,1]
	v_pk_fma_f16 v33, v35, v49, v33 op_sel_hi:[1,0,1]
	v_pk_fma_f16 v39, v36, v49, v39 op_sel_hi:[1,0,1]
	v_pk_fma_f16 v54, v37, v49, v54 op_sel_hi:[1,0,1]
	s_waitcnt lgkmcnt(0)
	v_pk_fma_f16 v55, v44, v49, v55 op_sel_hi:[1,0,1]
	v_pk_fma_f16 v52, v45, v49, v52 op_sel_hi:[1,0,1]
	v_pk_fma_f16 v53, v46, v49, v53 op_sel_hi:[1,0,1]
	v_pk_fma_f16 v48, v47, v49, v48 op_sel_hi:[1,0,1]
	ds_read2_b64 v[34:37], v30 offset0:128 offset1:160
	ds_read2_b64 v[44:47], v30 offset0:192 offset1:224
	s_waitcnt lgkmcnt(1)
	v_pk_fma_f16 v38, v34, v49, v38 op_sel:[0,1,0]
	v_pk_fma_f16 v33, v35, v49, v33 op_sel:[0,1,0]
	v_pk_fma_f16 v39, v36, v49, v39 op_sel:[0,1,0]
	v_pk_fma_f16 v54, v37, v49, v54 op_sel:[0,1,0]
	s_waitcnt lgkmcnt(0)
	v_pk_fma_f16 v55, v44, v49, v55 op_sel:[0,1,0]
	v_pk_fma_f16 v52, v45, v49, v52 op_sel:[0,1,0]
	v_pk_fma_f16 v53, v46, v49, v53 op_sel:[0,1,0]
	v_pk_fma_f16 v48, v47, v49, v48 op_sel:[0,1,0]
	ds_read2_b64 v[34:37], v31 offset1:32
	ds_read2_b64 v[44:47], v31 offset0:64 offset1:96
	s_waitcnt lgkmcnt(1)
	v_pk_fma_f16 v38, v34, v50, v38 op_sel_hi:[1,0,1]
	v_pk_fma_f16 v33, v35, v50, v33 op_sel_hi:[1,0,1]
	v_pk_fma_f16 v39, v36, v50, v39 op_sel_hi:[1,0,1]
	v_pk_fma_f16 v49, v37, v50, v54 op_sel_hi:[1,0,1]
	s_waitcnt lgkmcnt(0)
	v_pk_fma_f16 v54, v44, v50, v55 op_sel_hi:[1,0,1]
	v_pk_fma_f16 v52, v45, v50, v52 op_sel_hi:[1,0,1]
	v_pk_fma_f16 v53, v46, v50, v53 op_sel_hi:[1,0,1]
	v_pk_fma_f16 v48, v47, v50, v48 op_sel_hi:[1,0,1]
	;; [unrolled: 24-line block ×3, first 2 shown]
	ds_read2_b64 v[34:37], v32 offset0:128 offset1:160
	ds_read2_b64 v[44:47], v32 offset0:192 offset1:224
	s_waitcnt lgkmcnt(0)
	s_barrier
	v_pk_fma_f16 v54, v34, v51, v38 op_sel:[0,1,0]
	v_add_co_u32_e32 v38, vcc, s8, v23
	v_mov_b32_e32 v34, s9
	v_pk_fma_f16 v55, v36, v51, v39 op_sel:[0,1,0]
	v_addc_co_u32_e32 v39, vcc, v24, v34, vcc
	v_pk_fma_f16 v33, v35, v51, v33 op_sel:[0,1,0]
	v_pk_fma_f16 v56, v37, v51, v49 op_sel:[0,1,0]
	global_load_dwordx4 v[34:37], v[38:39], off
	v_pk_fma_f16 v57, v44, v51, v50 op_sel:[0,1,0]
	v_pk_fma_f16 v52, v45, v51, v52 op_sel:[0,1,0]
	;; [unrolled: 1-line block ×4, first 2 shown]
	s_or_b32 s8, s6, 56
	s_mul_hi_i32 s9, s8, s15
	s_mul_i32 s8, s8, s15
	s_lshl_b64 s[8:9], s[8:9], 2
	s_waitcnt vmcnt(0)
	ds_write_b128 v20, v[34:37]
	global_load_dwordx4 v[34:37], v[38:39], off offset:512
	s_waitcnt vmcnt(0)
	ds_write_b128 v21, v[34:37]
	s_waitcnt lgkmcnt(0)
	s_barrier
	ds_read2_b64 v[34:37], v22 offset1:32
	ds_read2_b64 v[44:47], v22 offset0:64 offset1:96
	ds_read_b128 v[48:51], v18 offset:96
	s_waitcnt lgkmcnt(0)
	v_pk_fma_f16 v38, v34, v48, v54 op_sel_hi:[1,0,1]
	v_pk_fma_f16 v33, v35, v48, v33 op_sel_hi:[1,0,1]
	;; [unrolled: 1-line block ×8, first 2 shown]
	ds_read2_b64 v[34:37], v22 offset0:128 offset1:160
	ds_read2_b64 v[44:47], v22 offset0:192 offset1:224
	s_waitcnt lgkmcnt(1)
	v_pk_fma_f16 v38, v34, v48, v38 op_sel:[0,1,0]
	v_pk_fma_f16 v33, v35, v48, v33 op_sel:[0,1,0]
	v_pk_fma_f16 v39, v36, v48, v39 op_sel:[0,1,0]
	v_pk_fma_f16 v54, v37, v48, v54 op_sel:[0,1,0]
	s_waitcnt lgkmcnt(0)
	v_pk_fma_f16 v55, v44, v48, v55 op_sel:[0,1,0]
	v_pk_fma_f16 v52, v45, v48, v52 op_sel:[0,1,0]
	v_pk_fma_f16 v53, v46, v48, v53 op_sel:[0,1,0]
	v_pk_fma_f16 v48, v47, v48, v56 op_sel:[0,1,0]
	ds_read2_b64 v[34:37], v30 offset1:32
	ds_read2_b64 v[44:47], v30 offset0:64 offset1:96
	s_waitcnt lgkmcnt(1)
	v_pk_fma_f16 v38, v34, v49, v38 op_sel_hi:[1,0,1]
	v_pk_fma_f16 v33, v35, v49, v33 op_sel_hi:[1,0,1]
	v_pk_fma_f16 v39, v36, v49, v39 op_sel_hi:[1,0,1]
	v_pk_fma_f16 v54, v37, v49, v54 op_sel_hi:[1,0,1]
	s_waitcnt lgkmcnt(0)
	v_pk_fma_f16 v55, v44, v49, v55 op_sel_hi:[1,0,1]
	v_pk_fma_f16 v52, v45, v49, v52 op_sel_hi:[1,0,1]
	v_pk_fma_f16 v53, v46, v49, v53 op_sel_hi:[1,0,1]
	v_pk_fma_f16 v48, v47, v49, v48 op_sel_hi:[1,0,1]
	ds_read2_b64 v[34:37], v30 offset0:128 offset1:160
	ds_read2_b64 v[44:47], v30 offset0:192 offset1:224
	s_waitcnt lgkmcnt(1)
	v_pk_fma_f16 v38, v34, v49, v38 op_sel:[0,1,0]
	v_pk_fma_f16 v33, v35, v49, v33 op_sel:[0,1,0]
	v_pk_fma_f16 v39, v36, v49, v39 op_sel:[0,1,0]
	v_pk_fma_f16 v54, v37, v49, v54 op_sel:[0,1,0]
	s_waitcnt lgkmcnt(0)
	v_pk_fma_f16 v55, v44, v49, v55 op_sel:[0,1,0]
	v_pk_fma_f16 v52, v45, v49, v52 op_sel:[0,1,0]
	v_pk_fma_f16 v53, v46, v49, v53 op_sel:[0,1,0]
	v_pk_fma_f16 v48, v47, v49, v48 op_sel:[0,1,0]
	ds_read2_b64 v[34:37], v31 offset1:32
	ds_read2_b64 v[44:47], v31 offset0:64 offset1:96
	s_waitcnt lgkmcnt(1)
	v_pk_fma_f16 v38, v34, v50, v38 op_sel_hi:[1,0,1]
	v_pk_fma_f16 v33, v35, v50, v33 op_sel_hi:[1,0,1]
	v_pk_fma_f16 v39, v36, v50, v39 op_sel_hi:[1,0,1]
	v_pk_fma_f16 v49, v37, v50, v54 op_sel_hi:[1,0,1]
	s_waitcnt lgkmcnt(0)
	v_pk_fma_f16 v54, v44, v50, v55 op_sel_hi:[1,0,1]
	v_pk_fma_f16 v52, v45, v50, v52 op_sel_hi:[1,0,1]
	v_pk_fma_f16 v53, v46, v50, v53 op_sel_hi:[1,0,1]
	v_pk_fma_f16 v48, v47, v50, v48 op_sel_hi:[1,0,1]
	;; [unrolled: 24-line block ×3, first 2 shown]
	ds_read2_b64 v[34:37], v32 offset0:128 offset1:160
	ds_read2_b64 v[44:47], v32 offset0:192 offset1:224
	s_waitcnt lgkmcnt(0)
	s_barrier
	v_pk_fma_f16 v54, v34, v51, v38 op_sel:[0,1,0]
	v_add_co_u32_e32 v38, vcc, s8, v23
	v_mov_b32_e32 v34, s9
	v_pk_fma_f16 v55, v36, v51, v39 op_sel:[0,1,0]
	v_addc_co_u32_e32 v39, vcc, v24, v34, vcc
	v_pk_fma_f16 v33, v35, v51, v33 op_sel:[0,1,0]
	v_pk_fma_f16 v56, v37, v51, v49 op_sel:[0,1,0]
	global_load_dwordx4 v[34:37], v[38:39], off
	v_pk_fma_f16 v57, v44, v51, v50 op_sel:[0,1,0]
	v_pk_fma_f16 v52, v45, v51, v52 op_sel:[0,1,0]
	v_pk_fma_f16 v53, v46, v51, v53 op_sel:[0,1,0]
	v_pk_fma_f16 v58, v47, v51, v48 op_sel:[0,1,0]
	s_waitcnt vmcnt(0)
	ds_write_b128 v20, v[34:37]
	global_load_dwordx4 v[34:37], v[38:39], off offset:512
	s_waitcnt vmcnt(0)
	ds_write_b128 v21, v[34:37]
	s_waitcnt lgkmcnt(0)
	s_barrier
	ds_read2_b64 v[34:37], v22 offset1:32
	ds_read2_b64 v[44:47], v22 offset0:64 offset1:96
	ds_read_b128 v[48:51], v18 offset:112
	s_waitcnt lgkmcnt(0)
	v_pk_fma_f16 v38, v34, v48, v54 op_sel_hi:[1,0,1]
	v_pk_fma_f16 v33, v35, v48, v33 op_sel_hi:[1,0,1]
	v_pk_fma_f16 v39, v36, v48, v55 op_sel_hi:[1,0,1]
	v_pk_fma_f16 v54, v37, v48, v56 op_sel_hi:[1,0,1]
	v_pk_fma_f16 v55, v44, v48, v57 op_sel_hi:[1,0,1]
	v_pk_fma_f16 v52, v45, v48, v52 op_sel_hi:[1,0,1]
	v_pk_fma_f16 v53, v46, v48, v53 op_sel_hi:[1,0,1]
	v_pk_fma_f16 v56, v47, v48, v58 op_sel_hi:[1,0,1]
	ds_read2_b64 v[34:37], v22 offset0:128 offset1:160
	ds_read2_b64 v[44:47], v22 offset0:192 offset1:224
	s_waitcnt lgkmcnt(1)
	v_pk_fma_f16 v38, v34, v48, v38 op_sel:[0,1,0]
	v_pk_fma_f16 v33, v35, v48, v33 op_sel:[0,1,0]
	v_pk_fma_f16 v39, v36, v48, v39 op_sel:[0,1,0]
	v_pk_fma_f16 v54, v37, v48, v54 op_sel:[0,1,0]
	s_waitcnt lgkmcnt(0)
	v_pk_fma_f16 v55, v44, v48, v55 op_sel:[0,1,0]
	v_pk_fma_f16 v52, v45, v48, v52 op_sel:[0,1,0]
	v_pk_fma_f16 v53, v46, v48, v53 op_sel:[0,1,0]
	v_pk_fma_f16 v48, v47, v48, v56 op_sel:[0,1,0]
	ds_read2_b64 v[34:37], v30 offset1:32
	ds_read2_b64 v[44:47], v30 offset0:64 offset1:96
	s_waitcnt lgkmcnt(1)
	v_pk_fma_f16 v38, v34, v49, v38 op_sel_hi:[1,0,1]
	v_pk_fma_f16 v33, v35, v49, v33 op_sel_hi:[1,0,1]
	v_pk_fma_f16 v39, v36, v49, v39 op_sel_hi:[1,0,1]
	v_pk_fma_f16 v54, v37, v49, v54 op_sel_hi:[1,0,1]
	s_waitcnt lgkmcnt(0)
	v_pk_fma_f16 v55, v44, v49, v55 op_sel_hi:[1,0,1]
	v_pk_fma_f16 v52, v45, v49, v52 op_sel_hi:[1,0,1]
	v_pk_fma_f16 v53, v46, v49, v53 op_sel_hi:[1,0,1]
	v_pk_fma_f16 v48, v47, v49, v48 op_sel_hi:[1,0,1]
	ds_read2_b64 v[34:37], v30 offset0:128 offset1:160
	ds_read2_b64 v[44:47], v30 offset0:192 offset1:224
	s_waitcnt lgkmcnt(1)
	v_pk_fma_f16 v30, v34, v49, v38 op_sel:[0,1,0]
	v_pk_fma_f16 v33, v35, v49, v33 op_sel:[0,1,0]
	v_pk_fma_f16 v38, v36, v49, v39 op_sel:[0,1,0]
	v_pk_fma_f16 v39, v37, v49, v54 op_sel:[0,1,0]
	s_waitcnt lgkmcnt(0)
	v_pk_fma_f16 v54, v44, v49, v55 op_sel:[0,1,0]
	v_pk_fma_f16 v52, v45, v49, v52 op_sel:[0,1,0]
	v_pk_fma_f16 v53, v46, v49, v53 op_sel:[0,1,0]
	v_pk_fma_f16 v48, v47, v49, v48 op_sel:[0,1,0]
	ds_read2_b64 v[34:37], v31 offset1:32
	ds_read2_b64 v[44:47], v31 offset0:64 offset1:96
	s_waitcnt lgkmcnt(1)
	v_pk_fma_f16 v30, v34, v50, v30 op_sel_hi:[1,0,1]
	v_pk_fma_f16 v33, v35, v50, v33 op_sel_hi:[1,0,1]
	v_pk_fma_f16 v38, v36, v50, v38 op_sel_hi:[1,0,1]
	v_pk_fma_f16 v39, v37, v50, v39 op_sel_hi:[1,0,1]
	s_waitcnt lgkmcnt(0)
	v_pk_fma_f16 v49, v44, v50, v54 op_sel_hi:[1,0,1]
	v_pk_fma_f16 v52, v45, v50, v52 op_sel_hi:[1,0,1]
	v_pk_fma_f16 v53, v46, v50, v53 op_sel_hi:[1,0,1]
	v_pk_fma_f16 v48, v47, v50, v48 op_sel_hi:[1,0,1]
	;; [unrolled: 24-line block ×3, first 2 shown]
	ds_read2_b64 v[36:39], v32 offset0:128 offset1:160
	ds_read2_b64 v[44:47], v32 offset0:192 offset1:224
	s_waitcnt lgkmcnt(0)
	s_barrier
	s_load_dword s8, s[0:1], 0x4
	v_pk_fma_f16 v32, v36, v51, v30 op_sel:[0,1,0]
	v_pk_fma_f16 v31, v37, v51, v31 op_sel:[0,1,0]
	v_pk_fma_f16 v37, v38, v51, v33 op_sel:[0,1,0]
	v_pk_fma_f16 v36, v39, v51, v34 op_sel:[0,1,0]
	s_waitcnt lgkmcnt(0)
	s_lshl_b32 s8, s8, 6
	s_add_i32 s6, s8, s6
	v_pk_fma_f16 v35, v44, v51, v35 op_sel:[0,1,0]
	v_pk_fma_f16 v34, v45, v51, v49 op_sel:[0,1,0]
	;; [unrolled: 1-line block ×4, first 2 shown]
	s_cmp_lt_i32 s6, s28
	s_cbranch_scc0 .LBB31_19
; %bb.18:                               ;   in Loop: Header=BB31_9 Depth=1
	v_mov_b32_e32 v39, v8
	v_mov_b32_e32 v38, v43
	s_branch .LBB31_9
.LBB31_19:
	v_cmp_lt_i32_e32 vcc, v10, v9
	v_cndmask_b32_e32 v2, v3, v10, vcc
	v_lshlrev_b32_e32 v2, 2, v2
	ds_bpermute_b32 v2, v2, v43
	v_cmp_lt_i32_e32 vcc, v11, v9
	v_cndmask_b32_e32 v4, v3, v11, vcc
	v_lshlrev_b32_e32 v4, 2, v4
	v_cmp_lt_i32_e32 vcc, v40, v9
	s_waitcnt lgkmcnt(0)
	v_add_f32_e32 v2, v43, v2
	ds_bpermute_b32 v4, v4, v2
	v_cndmask_b32_e32 v5, v3, v40, vcc
	v_lshlrev_b32_e32 v5, 2, v5
	v_cmp_lt_i32_e32 vcc, v41, v9
	s_cmp_eq_u64 s[16:17], 0
	s_waitcnt lgkmcnt(0)
	v_add_f32_e32 v2, v2, v4
	ds_bpermute_b32 v4, v5, v2
	v_cndmask_b32_e32 v5, v3, v41, vcc
	v_lshlrev_b32_e32 v5, 2, v5
	v_cmp_lt_i32_e32 vcc, v42, v9
	v_cndmask_b32_e32 v3, v3, v42, vcc
	s_waitcnt lgkmcnt(0)
	v_add_f32_e32 v2, v2, v4
	ds_bpermute_b32 v4, v5, v2
	v_lshlrev_b32_e32 v3, 2, v3
	s_cselect_b64 s[0:1], -1, 0
	s_cmp_lg_u32 s7, 0
	s_cselect_b64 s[8:9], -1, 0
	s_waitcnt lgkmcnt(0)
	v_add_f32_e32 v2, v2, v4
	ds_bpermute_b32 v3, v3, v2
	s_or_b64 s[0:1], s[8:9], s[0:1]
	s_and_b64 vcc, exec, s[0:1]
	s_waitcnt lgkmcnt(0)
	v_add_f32_e32 v9, v2, v3
	s_cbranch_vccnz .LBB31_22
; %bb.20:
	v_add_u32_e32 v2, s29, v1
	v_ashrrev_i32_e32 v3, 31, v2
	v_lshlrev_b64 v[2:3], 2, v[2:3]
	v_mov_b32_e32 v4, s17
	v_add_co_u32_e32 v2, vcc, s16, v2
	v_addc_co_u32_e32 v3, vcc, v4, v3, vcc
	global_load_dword v3, v[2:3], off
	v_max_f32_e32 v2, v8, v8
	s_mov_b32 s0, 0x3fb8aa3b
	s_mov_b32 s1, 0xc2ce8ed0
	s_waitcnt vmcnt(0)
	v_max_f32_e32 v4, v3, v3
	v_max_f32_e32 v2, v2, v4
	v_sub_f32_e32 v4, v8, v2
	v_sub_f32_e32 v3, v3, v2
	v_mul_f32_e32 v5, 0x3fb8aa3b, v4
	v_mul_f32_e32 v6, 0x3fb8aa3b, v3
	v_fma_f32 v7, v4, s0, -v5
	v_rndne_f32_e32 v8, v5
	v_fma_f32 v10, v3, s0, -v6
	v_rndne_f32_e32 v11, v6
	v_fmac_f32_e32 v7, 0x32a5705f, v4
	v_sub_f32_e32 v5, v5, v8
	v_fmac_f32_e32 v10, 0x32a5705f, v3
	v_sub_f32_e32 v6, v6, v11
	v_add_f32_e32 v5, v5, v7
	v_cvt_i32_f32_e32 v8, v8
	v_add_f32_e32 v6, v6, v10
	v_exp_f32_e32 v5, v5
	v_cvt_i32_f32_e32 v11, v11
	v_exp_f32_e32 v6, v6
	v_cmp_ngt_f32_e32 vcc, s1, v4
	v_ldexp_f32 v5, v5, v8
	s_mov_b32 s0, 0x42b17218
	v_ldexp_f32 v6, v6, v11
	v_cndmask_b32_e32 v5, 0, v5, vcc
	v_cmp_ngt_f32_e32 vcc, s1, v3
	v_mov_b32_e32 v7, 0x7f800000
	v_cndmask_b32_e32 v6, 0, v6, vcc
	v_cmp_nlt_f32_e32 vcc, s0, v4
	v_cndmask_b32_e32 v4, v7, v5, vcc
	v_cvt_f16_f32_e32 v5, v4
	v_cmp_nlt_f32_e32 vcc, s0, v3
	v_cndmask_b32_e32 v3, v7, v6, vcc
	v_fmac_f32_e32 v3, v9, v4
	v_pk_mul_f16 v32, v5, v32 op_sel_hi:[0,1]
	v_pk_mul_f16 v31, v5, v31 op_sel_hi:[0,1]
	;; [unrolled: 1-line block ×8, first 2 shown]
	v_pk_mov_b32 v[8:9], v[2:3], v[2:3] op_sel:[0,1]
	v_cmp_gt_i32_e32 vcc, s2, v12
	s_and_saveexec_b64 s[0:1], vcc
	s_cbranch_execnz .LBB31_23
.LBB31_21:
	s_endpgm
.LBB31_22:
	v_mov_b32_e32 v3, v9
	v_cmp_gt_i32_e32 vcc, s2, v12
	s_and_saveexec_b64 s[0:1], vcc
	s_cbranch_execz .LBB31_21
.LBB31_23:
	v_div_scale_f32 v2, s[0:1], v3, v3, 1.0
	v_rcp_f32_e32 v4, v2
	s_load_dword s4, s[4:5], 0xd4
	s_mul_i32 s33, s33, s2
	v_cvt_f32_f16_sdwa v15, v31 dst_sel:DWORD dst_unused:UNUSED_PAD src0_sel:WORD_1
	v_fma_f32 v5, -v2, v4, 1.0
	v_fmac_f32_e32 v4, v5, v4
	v_div_scale_f32 v5, vcc, 1.0, v3, 1.0
	v_mul_f32_e32 v6, v5, v4
	v_fma_f32 v7, -v2, v6, v5
	v_fmac_f32_e32 v6, v7, v4
	v_fma_f32 v2, -v2, v6, v5
	s_waitcnt lgkmcnt(0)
	s_cmp_lg_u32 s4, 1
	v_div_fmas_f32 v2, v2, v4, v6
	v_div_fixup_f32 v2, v2, v3, 1.0
	s_cselect_b64 s[0:1], -1, 0
	v_cndmask_b32_e64 v10, v2, 1.0, s[0:1]
	v_add_u32_e32 v2, s33, v12
	v_mul_lo_u32 v2, v2, s3
	v_add3_u32 v1, s29, v1, v2
	v_mul_lo_u32 v1, s4, v1
	v_add_u32_e32 v2, s7, v1
	v_cvt_f32_f16_sdwa v7, v32 dst_sel:DWORD dst_unused:UNUSED_PAD src0_sel:WORD_1
	v_cvt_f32_f16_e32 v6, v32
	v_cvt_f32_f16_e32 v14, v31
	v_lshl_add_u32 v12, v2, 9, v13
	v_mov_b32_e32 v13, 0
	v_lshlrev_b64 v[4:5], 2, v[12:13]
	v_mov_b32_e32 v1, s21
	v_add_co_u32_e32 v16, vcc, s20, v4
	v_addc_co_u32_e32 v17, vcc, v1, v5, vcc
	v_pk_mul_f32 v[4:5], v[10:11], v[6:7] op_sel_hi:[0,1]
	v_pk_mul_f32 v[6:7], v[10:11], v[14:15] op_sel_hi:[0,1]
	global_store_dwordx4 v[16:17], v[4:7], off
	v_cvt_f32_f16_sdwa v15, v36 dst_sel:DWORD dst_unused:UNUSED_PAD src0_sel:WORD_1
	v_cvt_f32_f16_sdwa v7, v37 dst_sel:DWORD dst_unused:UNUSED_PAD src0_sel:WORD_1
	v_cvt_f32_f16_e32 v6, v37
	v_cvt_f32_f16_e32 v14, v36
	v_add_u32_e32 v4, 0x80, v12
	v_mov_b32_e32 v5, v13
	v_lshlrev_b64 v[4:5], 2, v[4:5]
	v_add_co_u32_e32 v16, vcc, s20, v4
	v_addc_co_u32_e32 v17, vcc, v1, v5, vcc
	v_pk_mul_f32 v[4:5], v[10:11], v[6:7] op_sel_hi:[0,1]
	v_pk_mul_f32 v[6:7], v[10:11], v[14:15] op_sel_hi:[0,1]
	global_store_dwordx4 v[16:17], v[4:7], off
	v_cvt_f32_f16_sdwa v15, v34 dst_sel:DWORD dst_unused:UNUSED_PAD src0_sel:WORD_1
	v_cvt_f32_f16_sdwa v7, v35 dst_sel:DWORD dst_unused:UNUSED_PAD src0_sel:WORD_1
	v_cvt_f32_f16_e32 v6, v35
	v_cvt_f32_f16_e32 v14, v34
	v_add_u32_e32 v4, 0x100, v12
	v_mov_b32_e32 v5, v13
	v_lshlrev_b64 v[4:5], 2, v[4:5]
	v_add_co_u32_e32 v16, vcc, s20, v4
	v_addc_co_u32_e32 v17, vcc, v1, v5, vcc
	v_pk_mul_f32 v[4:5], v[10:11], v[6:7] op_sel_hi:[0,1]
	v_pk_mul_f32 v[6:7], v[10:11], v[14:15] op_sel_hi:[0,1]
	v_add_u32_e32 v12, 0x180, v12
	global_store_dwordx4 v[16:17], v[4:7], off
	s_nop 0
	v_lshlrev_b64 v[4:5], 2, v[12:13]
	v_cvt_f32_f16_sdwa v7, v33 dst_sel:DWORD dst_unused:UNUSED_PAD src0_sel:WORD_1
	v_cvt_f32_f16_e32 v6, v33
	v_cvt_f32_f16_sdwa v13, v30 dst_sel:DWORD dst_unused:UNUSED_PAD src0_sel:WORD_1
	v_cvt_f32_f16_e32 v12, v30
	v_add_co_u32_e32 v14, vcc, s20, v4
	v_addc_co_u32_e32 v15, vcc, v1, v5, vcc
	v_cmp_eq_u32_e32 vcc, 0, v0
	v_pk_mul_f32 v[4:5], v[10:11], v[6:7] op_sel_hi:[0,1]
	v_pk_mul_f32 v[6:7], v[10:11], v[12:13] op_sel_hi:[0,1]
	s_and_b64 s[0:1], vcc, s[0:1]
	global_store_dwordx4 v[14:15], v[4:7], off
	s_and_b64 exec, exec, s[0:1]
	s_cbranch_execz .LBB31_21
; %bb.24:
	v_ashrrev_i32_e32 v3, 31, v2
	v_lshlrev_b64 v[0:1], 3, v[2:3]
	v_mov_b32_e32 v2, s23
	v_add_co_u32_e32 v0, vcc, s22, v0
	v_addc_co_u32_e32 v1, vcc, v2, v1, vcc
	global_store_dwordx2 v[0:1], v[8:9], off
	s_endpgm
	.section	.rodata,"a",@progbits
	.p2align	6, 0x0
	.amdhsa_kernel _ZL15flash_attn_tileILi512ELi512ELi2ELi4ELb1EEvPKcS1_S1_S1_S1_PKiPfP15HIP_vector_typeIfLj2EEffffjfiS5_IjLj3EEiiiiiiiiiiiliiliiiiil
		.amdhsa_group_segment_fixed_size 18432
		.amdhsa_private_segment_fixed_size 0
		.amdhsa_kernarg_size 464
		.amdhsa_user_sgpr_count 6
		.amdhsa_user_sgpr_private_segment_buffer 1
		.amdhsa_user_sgpr_dispatch_ptr 0
		.amdhsa_user_sgpr_queue_ptr 0
		.amdhsa_user_sgpr_kernarg_segment_ptr 1
		.amdhsa_user_sgpr_dispatch_id 0
		.amdhsa_user_sgpr_flat_scratch_init 0
		.amdhsa_user_sgpr_kernarg_preload_length 0
		.amdhsa_user_sgpr_kernarg_preload_offset 0
		.amdhsa_user_sgpr_private_segment_size 0
		.amdhsa_uses_dynamic_stack 0
		.amdhsa_system_sgpr_private_segment_wavefront_offset 0
		.amdhsa_system_sgpr_workgroup_id_x 1
		.amdhsa_system_sgpr_workgroup_id_y 1
		.amdhsa_system_sgpr_workgroup_id_z 1
		.amdhsa_system_sgpr_workgroup_info 0
		.amdhsa_system_vgpr_workitem_id 1
		.amdhsa_next_free_vgpr 59
		.amdhsa_next_free_sgpr 44
		.amdhsa_accum_offset 60
		.amdhsa_reserve_vcc 1
		.amdhsa_reserve_flat_scratch 0
		.amdhsa_float_round_mode_32 0
		.amdhsa_float_round_mode_16_64 0
		.amdhsa_float_denorm_mode_32 3
		.amdhsa_float_denorm_mode_16_64 3
		.amdhsa_dx10_clamp 1
		.amdhsa_ieee_mode 1
		.amdhsa_fp16_overflow 0
		.amdhsa_tg_split 0
		.amdhsa_exception_fp_ieee_invalid_op 0
		.amdhsa_exception_fp_denorm_src 0
		.amdhsa_exception_fp_ieee_div_zero 0
		.amdhsa_exception_fp_ieee_overflow 0
		.amdhsa_exception_fp_ieee_underflow 0
		.amdhsa_exception_fp_ieee_inexact 0
		.amdhsa_exception_int_div_zero 0
	.end_amdhsa_kernel
	.section	.text._ZL15flash_attn_tileILi512ELi512ELi2ELi4ELb1EEvPKcS1_S1_S1_S1_PKiPfP15HIP_vector_typeIfLj2EEffffjfiS5_IjLj3EEiiiiiiiiiiiliiliiiiil,"axG",@progbits,_ZL15flash_attn_tileILi512ELi512ELi2ELi4ELb1EEvPKcS1_S1_S1_S1_PKiPfP15HIP_vector_typeIfLj2EEffffjfiS5_IjLj3EEiiiiiiiiiiiliiliiiiil,comdat
.Lfunc_end31:
	.size	_ZL15flash_attn_tileILi512ELi512ELi2ELi4ELb1EEvPKcS1_S1_S1_S1_PKiPfP15HIP_vector_typeIfLj2EEffffjfiS5_IjLj3EEiiiiiiiiiiiliiliiiiil, .Lfunc_end31-_ZL15flash_attn_tileILi512ELi512ELi2ELi4ELb1EEvPKcS1_S1_S1_S1_PKiPfP15HIP_vector_typeIfLj2EEffffjfiS5_IjLj3EEiiiiiiiiiiiliiliiiiil
                                        ; -- End function
	.section	.AMDGPU.csdata,"",@progbits
; Kernel info:
; codeLenInByte = 16672
; NumSgprs: 48
; NumVgprs: 59
; NumAgprs: 0
; TotalNumVgprs: 59
; ScratchSize: 0
; MemoryBound: 0
; FloatMode: 240
; IeeeMode: 1
; LDSByteSize: 18432 bytes/workgroup (compile time only)
; SGPRBlocks: 5
; VGPRBlocks: 7
; NumSGPRsForWavesPerEU: 48
; NumVGPRsForWavesPerEU: 59
; AccumOffset: 60
; Occupancy: 3
; WaveLimiterHint : 1
; COMPUTE_PGM_RSRC2:SCRATCH_EN: 0
; COMPUTE_PGM_RSRC2:USER_SGPR: 6
; COMPUTE_PGM_RSRC2:TRAP_HANDLER: 0
; COMPUTE_PGM_RSRC2:TGID_X_EN: 1
; COMPUTE_PGM_RSRC2:TGID_Y_EN: 1
; COMPUTE_PGM_RSRC2:TGID_Z_EN: 1
; COMPUTE_PGM_RSRC2:TIDIG_COMP_CNT: 1
; COMPUTE_PGM_RSRC3_GFX90A:ACCUM_OFFSET: 14
; COMPUTE_PGM_RSRC3_GFX90A:TG_SPLIT: 0
	.section	.text._ZL15flash_attn_tileILi512ELi512ELi1ELi4ELb1EEvPKcS1_S1_S1_S1_PKiPfP15HIP_vector_typeIfLj2EEffffjfiS5_IjLj3EEiiiiiiiiiiiliiliiiiil,"axG",@progbits,_ZL15flash_attn_tileILi512ELi512ELi1ELi4ELb1EEvPKcS1_S1_S1_S1_PKiPfP15HIP_vector_typeIfLj2EEffffjfiS5_IjLj3EEiiiiiiiiiiiliiliiiiil,comdat
	.globl	_ZL15flash_attn_tileILi512ELi512ELi1ELi4ELb1EEvPKcS1_S1_S1_S1_PKiPfP15HIP_vector_typeIfLj2EEffffjfiS5_IjLj3EEiiiiiiiiiiiliiliiiiil ; -- Begin function _ZL15flash_attn_tileILi512ELi512ELi1ELi4ELb1EEvPKcS1_S1_S1_S1_PKiPfP15HIP_vector_typeIfLj2EEffffjfiS5_IjLj3EEiiiiiiiiiiiliiliiiiil
	.p2align	8
	.type	_ZL15flash_attn_tileILi512ELi512ELi1ELi4ELb1EEvPKcS1_S1_S1_S1_PKiPfP15HIP_vector_typeIfLj2EEffffjfiS5_IjLj3EEiiiiiiiiiiiliiliiiiil,@function
_ZL15flash_attn_tileILi512ELi512ELi1ELi4ELb1EEvPKcS1_S1_S1_S1_PKiPfP15HIP_vector_typeIfLj2EEffffjfiS5_IjLj3EEiiiiiiiiiiiliiliiiiil: ; @_ZL15flash_attn_tileILi512ELi512ELi1ELi4ELb1EEvPKcS1_S1_S1_S1_PKiPfP15HIP_vector_typeIfLj2EEffffjfiS5_IjLj3EEiiiiiiiiiiiliiliiiiil
; %bb.0:
	s_load_dwordx4 s[0:3], s[4:5], 0x5c
	s_load_dwordx2 s[28:29], s[4:5], 0x80
	s_load_dwordx2 s[34:35], s[4:5], 0xb8
	s_mov_b64 s[30:31], 0
	s_waitcnt lgkmcnt(0)
	s_ashr_i32 s9, s3, 31
	s_lshr_b32 s9, s9, 30
	s_add_i32 s9, s3, s9
	s_ashr_i32 s9, s9, 2
	v_cvt_f32_u32_e32 v1, s9
	s_sub_i32 s10, 0, s9
	v_rcp_iflag_f32_e32 v1, v1
	v_mul_f32_e32 v1, 0x4f7ffffe, v1
	v_cvt_u32_f32_e32 v1, v1
	v_readfirstlane_b32 s11, v1
	s_mul_i32 s10, s10, s11
	s_mul_hi_u32 s10, s11, s10
	s_add_i32 s11, s11, s10
	s_mul_hi_u32 s10, s8, s11
	s_mul_i32 s11, s10, s9
	s_sub_i32 s11, s8, s11
	s_add_i32 s12, s10, 1
	s_sub_i32 s13, s11, s9
	s_cmp_ge_u32 s11, s9
	s_cselect_b32 s10, s12, s10
	s_cselect_b32 s11, s13, s11
	s_add_i32 s12, s10, 1
	s_cmp_ge_u32 s11, s9
	s_cselect_b32 s33, s12, s10
	s_abs_i32 s9, s29
	v_cvt_f32_u32_e32 v1, s9
	s_lshl_b32 s8, s8, 2
	s_mul_i32 s12, s33, s3
	s_xor_b32 s10, s3, s29
	v_rcp_iflag_f32_e32 v1, v1
	s_sub_i32 s13, 0, s9
	s_sub_i32 s29, s8, s12
	s_abs_i32 s11, s3
	v_mul_f32_e32 v1, 0x4f7ffffe, v1
	v_cvt_u32_f32_e32 v1, v1
	s_ashr_i32 s10, s10, 31
	v_readfirstlane_b32 s8, v1
	s_mul_i32 s13, s13, s8
	s_mul_hi_u32 s12, s8, s13
	s_add_i32 s8, s8, s12
	s_mul_hi_u32 s8, s11, s8
	s_mul_i32 s12, s8, s9
	s_sub_i32 s11, s11, s12
	s_add_i32 s13, s8, 1
	s_sub_i32 s12, s11, s9
	s_cmp_ge_u32 s11, s9
	s_cselect_b32 s8, s13, s8
	s_cselect_b32 s11, s12, s11
	s_add_i32 s12, s8, 1
	s_cmp_ge_u32 s11, s9
	s_cselect_b32 s8, s12, s8
	s_xor_b32 s8, s8, s10
	s_sub_i32 s37, s8, s10
	s_abs_i32 s36, s37
	v_cvt_f32_u32_e32 v1, s36
	s_load_dwordx16 s[8:23], s[4:5], 0x0
	v_rcp_iflag_f32_e32 v1, v1
	s_waitcnt lgkmcnt(0)
	s_cmp_eq_u64 s[14:15], 0
	v_mul_f32_e32 v1, 0x4f7ffffe, v1
	v_cvt_u32_f32_e32 v1, v1
	v_readfirstlane_b32 s24, v1
	s_cbranch_scc1 .LBB32_2
; %bb.1:
	s_abs_i32 s25, s34
	v_cvt_f32_u32_e32 v1, s25
	s_sub_i32 s34, 0, s25
	s_abs_i32 s31, s33
	s_ashr_i32 s30, s33, 31
	v_rcp_iflag_f32_e32 v1, v1
	s_load_dwordx2 s[26:27], s[4:5], 0xc8
	v_mul_f32_e32 v1, 0x4f7ffffe, v1
	v_cvt_u32_f32_e32 v1, v1
	v_readfirstlane_b32 s38, v1
	s_mul_i32 s34, s34, s38
	s_mul_hi_u32 s34, s38, s34
	s_add_i32 s38, s38, s34
	s_mul_hi_u32 s34, s31, s38
	s_mul_i32 s34, s34, s25
	s_sub_i32 s31, s31, s34
	s_sub_i32 s34, s31, s25
	s_cmp_ge_u32 s31, s25
	s_cselect_b32 s31, s34, s31
	s_sub_i32 s34, s31, s25
	s_cmp_ge_u32 s31, s25
	s_cselect_b32 s25, s34, s31
	s_xor_b32 s25, s25, s30
	s_sub_i32 s25, s25, s30
	s_ashr_i32 s30, s25, 31
	s_waitcnt lgkmcnt(0)
	s_mul_i32 s27, s25, s27
	s_mul_hi_u32 s31, s25, s26
	s_add_i32 s27, s31, s27
	s_mul_i32 s30, s30, s26
	s_add_i32 s27, s27, s30
	s_mul_i32 s25, s25, s26
	s_add_u32 s30, s14, s25
	s_addc_u32 s31, s15, s27
.LBB32_2:
	s_load_dwordx4 s[40:43], s[4:5], 0x70
	v_bfe_u32 v1, v0, 10, 10
	v_and_b32_e32 v153, 3, v1
	v_lshrrev_b32_e32 v6, 2, v1
	v_add_u32_e32 v137, s6, v6
	s_waitcnt lgkmcnt(0)
	s_mul_i32 s14, s33, s42
	s_ashr_i32 s25, s14, 31
	s_mul_i32 s15, s29, s41
	s_add_u32 s8, s8, s14
	s_addc_u32 s9, s9, s25
	s_ashr_i32 s14, s15, 31
	s_add_u32 s15, s8, s15
	s_addc_u32 s14, s9, s14
	s_ashr_i32 s25, s41, 31
	v_mov_b32_e32 v2, s41
	v_alignbit_b32 v2, s25, v2, 2
	v_mad_u64_u32 v[4:5], s[8:9], v2, v153, 0
	v_mov_b32_e32 v2, v5
	s_lshr_b32 s8, s25, 2
	v_mad_u64_u32 v[2:3], s[8:9], s8, v153, v[2:3]
	v_mov_b32_e32 v5, v2
	v_mul_hi_u32 v2, s0, v137
	v_add_u32_e32 v2, v137, v2
	v_lshrrev_b32_e32 v2, s1, v2
	v_mul_lo_u32 v2, v2, s2
	s_ashr_i32 s8, s40, 31
	v_mov_b32_e32 v3, s40
	v_sub_u32_e32 v2, v137, v2
	v_alignbit_b32 v3, s8, v3, 2
	v_mad_u64_u32 v[6:7], s[0:1], v3, v2, 0
	v_mov_b32_e32 v8, v7
	s_lshr_b32 s0, s8, 2
	v_mad_u64_u32 v[8:9], s[0:1], s0, v2, v[8:9]
	v_lshlrev_b64 v[4:5], 2, v[4:5]
	v_mov_b32_e32 v7, v8
	v_and_b32_e32 v136, 0x3ff, v0
	v_mov_b32_e32 v0, s14
	v_add_co_u32_e32 v3, vcc, s15, v4
	v_addc_co_u32_e32 v0, vcc, v0, v5, vcc
	v_lshlrev_b64 v[4:5], 2, v[6:7]
	v_add_co_u32_e32 v3, vcc, v3, v4
	v_addc_co_u32_e32 v0, vcc, v0, v5, vcc
	v_lshlrev_b32_e32 v4, 4, v136
	v_add_co_u32_e32 v20, vcc, v3, v4
	v_addc_co_u32_e32 v21, vcc, 0, v0, vcc
	global_load_dwordx4 v[4:7], v[20:21], off
	global_load_dwordx4 v[8:11], v[20:21], off offset:512
	global_load_dwordx4 v[12:15], v[20:21], off offset:1024
	global_load_dwordx4 v[16:19], v[20:21], off offset:1536
	s_load_dword s0, s[4:5], 0x40
	s_mov_b32 s1, 0
	v_lshlrev_b32_e32 v0, 10, v1
	v_lshl_or_b32 v3, v136, 3, v0
	v_add_u32_e32 v3, 0x2000, v3
	s_cmp_eq_u64 s[18:19], 0
	s_waitcnt vmcnt(3) lgkmcnt(0)
	v_pk_mul_f32 v[4:5], v[4:5], s[0:1] op_sel_hi:[1,0]
	v_pk_mul_f32 v[6:7], v[6:7], s[0:1] op_sel_hi:[1,0]
	s_waitcnt vmcnt(2)
	v_pk_mul_f32 v[8:9], v[8:9], s[0:1] op_sel_hi:[1,0]
	v_pk_mul_f32 v[10:11], v[10:11], s[0:1] op_sel_hi:[1,0]
	s_waitcnt vmcnt(1)
	;; [unrolled: 3-line block ×3, first 2 shown]
	v_pk_mul_f32 v[16:17], v[16:17], s[0:1] op_sel_hi:[1,0]
	v_pk_mul_f32 v[18:19], v[18:19], s[0:1] op_sel_hi:[1,0]
	v_cvt_f16_f32_e32 v20, v5
	v_cvt_f16_f32_e32 v4, v4
	;; [unrolled: 1-line block ×16, first 2 shown]
	v_pack_b32_f16 v5, v6, v5
	v_pack_b32_f16 v4, v4, v20
	v_pack_b32_f16 v7, v10, v7
	v_pack_b32_f16 v6, v8, v9
	v_pack_b32_f16 v9, v14, v13
	v_pack_b32_f16 v8, v12, v11
	v_pack_b32_f16 v11, v18, v17
	v_pack_b32_f16 v10, v16, v15
	ds_write2_b64 v3, v[4:5], v[6:7] offset0:128 offset1:160
	ds_write2_b64 v3, v[8:9], v[10:11] offset0:192 offset1:224
	s_waitcnt lgkmcnt(0)
	s_barrier
	s_cbranch_scc1 .LBB32_4
; %bb.3:
	s_load_dword s0, s[4:5], 0xd0
	s_waitcnt lgkmcnt(0)
	s_mul_i32 s0, s0, s33
	s_add_i32 s0, s0, s6
	s_lshl_b64 s[0:1], s[0:1], 2
	s_add_u32 s0, s18, s0
	s_addc_u32 s1, s19, s1
	s_load_dword s28, s[0:1], 0x0
.LBB32_4:
	s_lshl_b32 s6, s7, 6
	v_lshlrev_b32_e32 v154, 2, v136
	s_waitcnt lgkmcnt(0)
	s_cmp_lt_i32 s6, s28
	v_mbcnt_lo_u32_b32 v3, -1, 0
	s_cbranch_scc1 .LBB32_6
; %bb.5:
	v_mbcnt_hi_u32_b32 v139, -1, v3
	v_and_b32_e32 v4, 0x60, v139
	s_mov_b32 s8, 0
	v_add_u32_e32 v183, 32, v4
	v_xor_b32_e32 v182, 16, v139
	v_xor_b32_e32 v184, 8, v139
	v_xor_b32_e32 v185, 4, v139
	v_xor_b32_e32 v186, 2, v139
	v_xor_b32_e32 v187, 1, v139
	s_mov_b64 s[0:1], 0
	s_mov_b32 s9, 0xfeffffff
	s_branch .LBB32_7
.LBB32_6:
	s_mov_b64 s[0:1], -1
                                        ; implicit-def: $sgpr9
                                        ; implicit-def: $sgpr8
                                        ; implicit-def: $vgpr139
                                        ; implicit-def: $vgpr183
                                        ; implicit-def: $vgpr182
                                        ; implicit-def: $vgpr184
                                        ; implicit-def: $vgpr185
                                        ; implicit-def: $vgpr186
                                        ; implicit-def: $vgpr187
.LBB32_7:
	s_andn2_b64 vcc, exec, s[0:1]
	v_mov_b32_e32 v152, s9
	v_mov_b32_e32 v192, s8
	v_mov_b32_e32 v180, s8
	v_mov_b32_e32 v179, s8
	v_mov_b32_e32 v177, s8
	v_mov_b32_e32 v178, s8
	v_mov_b32_e32 v176, s8
	v_mov_b32_e32 v175, s8
	v_mov_b32_e32 v174, s8
	v_mov_b32_e32 v173, s8
	s_cbranch_vccnz .LBB32_19
; %bb.8:
	s_sub_i32 s0, 0, s36
	s_mul_i32 s0, s0, s24
	s_mul_hi_u32 s0, s24, s0
	s_abs_i32 s19, s29
	s_add_i32 s24, s24, s0
	s_mul_hi_u32 s34, s19, s24
	s_load_dwordx4 s[24:27], s[4:5], 0x98
	s_load_dword s14, s[4:5], 0x54
	s_load_dwordx2 s[0:1], s[4:5], 0x8c
	s_ashr_i32 s38, s29, 31
	s_ashr_i32 s37, s37, 31
	s_waitcnt lgkmcnt(0)
	s_mul_i32 s25, s33, s25
	s_mul_hi_u32 s39, s33, s24
	s_ashr_i32 s18, s0, 2
	s_ashr_i32 s0, s33, 31
	s_add_i32 s25, s39, s25
	s_mul_i32 s39, s0, s24
	s_ashr_i32 s15, s26, 2
	s_ashr_i32 s35, s35, 1
	s_add_i32 s25, s25, s39
	s_mul_i32 s24, s33, s24
	s_add_u32 s10, s10, s24
	s_addc_u32 s11, s11, s25
	s_mul_i32 s25, s34, s36
	s_sub_i32 s19, s19, s25
	s_xor_b32 s24, s38, s37
	s_add_i32 s25, s34, 1
	s_sub_i32 s37, s19, s36
	s_cmp_ge_u32 s19, s36
	s_cselect_b32 s25, s25, s34
	s_cselect_b32 s19, s37, s19
	s_add_i32 s34, s25, 1
	s_cmp_ge_u32 s19, s36
	s_load_dwordx2 s[8:9], s[4:5], 0xa8
	s_cselect_b32 s19, s34, s25
	s_xor_b32 s19, s19, s24
	s_sub_i32 s19, s19, s24
	s_mul_i32 s1, s19, s1
	s_ashr_i32 s24, s1, 31
	s_add_u32 s10, s10, s1
	s_waitcnt lgkmcnt(0)
	s_mul_i32 s1, s33, s9
	s_mul_hi_u32 s9, s33, s8
	s_addc_u32 s11, s11, s24
	s_add_i32 s1, s9, s1
	s_mul_i32 s0, s0, s8
	s_add_i32 s1, s1, s0
	s_mul_i32 s0, s33, s8
	s_add_u32 s0, s12, s0
	s_mul_i32 s19, s19, s27
	v_lshrrev_b32_e32 v4, 3, v136
	s_addc_u32 s1, s13, s1
	s_ashr_i32 s8, s19, 31
	v_lshl_add_u32 v5, v1, 2, v4
	v_and_b32_e32 v4, 28, v154
	s_add_u32 s12, s0, s19
	v_lshlrev_b32_e32 v6, 2, v4
	s_movk_i32 s0, 0x90
	s_addc_u32 s13, s1, s8
	v_mad_u32_u24 v155, v5, s0, v6
	v_mul_lo_u32 v6, s18, v5
	s_lshl_b32 s0, s18, 4
	v_add_u32_e32 v8, s0, v6
	v_add_u32_e32 v10, s0, v8
	;; [unrolled: 1-line block ×3, first 2 shown]
	v_mad_u64_u32 v[138:139], s[0:1], v2, s35, v[136:137]
	v_add_u32_e32 v159, 0x2400, v0
	v_lshl_add_u32 v163, v154, 2, v0
	v_mul_lo_u32 v0, s15, v1
	s_and_b32 s0, s26, -4
	v_mov_b32_e32 v2, 0x3400
	v_add_u32_e32 v14, s0, v0
	v_ashrrev_i32_e32 v7, 31, v6
	v_ashrrev_i32_e32 v9, 31, v8
	;; [unrolled: 1-line block ×4, first 2 shown]
	v_lshl_add_u32 v161, v1, 7, v2
	v_ashrrev_i32_e32 v1, 31, v0
	v_ashrrev_i32_e32 v15, 31, v14
	s_add_u32 s0, s4, 0xd0
	v_mov_b32_e32 v173, 0
	v_add_u32_e32 v156, 0x900, v155
	v_add_u32_e32 v157, 0x1200, v155
	;; [unrolled: 1-line block ×3, first 2 shown]
	v_mul_u32_u24_e32 v160, 0x90, v136
	v_lshl_add_u32 v162, v136, 1, v161
	v_add_u32_e32 v164, 0x200, v163
	v_add_u32_e32 v165, 0x1000, v163
	;; [unrolled: 1-line block ×3, first 2 shown]
	v_lshlrev_b32_e32 v167, 3, v136
	s_addc_u32 s1, s5, 0
	v_mov_b32_e32 v40, 0xfeffffff
	v_lshlrev_b64 v[140:141], 2, v[6:7]
	v_lshlrev_b32_e32 v168, 2, v4
	v_lshlrev_b64 v[142:143], 2, v[8:9]
	v_lshlrev_b64 v[144:145], 2, v[10:11]
	;; [unrolled: 1-line block ×3, first 2 shown]
	s_mov_b32 s19, 0x3f200000
	s_mov_b32 s24, 0x3fb8aa3b
	;; [unrolled: 1-line block ×4, first 2 shown]
	v_mov_b32_e32 v169, 0xbd5c1c4e
	v_mov_b32_e32 v170, 0x3e088382
	v_mov_b32_e32 v171, 0xbeaaaa99
	s_brev_b32 s27, -2
	v_mbcnt_hi_u32_b32 v139, -1, v3
	v_lshlrev_b64 v[148:149], 2, v[0:1]
	v_lshlrev_b64 v[150:151], 2, v[14:15]
	v_mov_b32_e32 v172, 0x7f800000
	v_mov_b32_e32 v174, 0
	v_mov_b32_e32 v175, 0
	v_mov_b32_e32 v176, 0
	v_mov_b32_e32 v178, 0
	v_mov_b32_e32 v177, 0
	v_mov_b32_e32 v179, 0
	v_mov_b32_e32 v180, 0
	v_mov_b32_e32 v181, 0
.LBB32_9:                               ; =>This Inner Loop Header: Depth=1
	s_mul_hi_i32 s9, s6, s18
	s_mul_i32 s8, s6, s18
	s_lshl_b64 s[8:9], s[8:9], 2
	s_add_u32 s8, s10, s8
	s_addc_u32 s9, s11, s9
	v_mov_b32_e32 v0, s9
	v_add_co_u32_e32 v1, vcc, s8, v140
	v_addc_co_u32_e32 v2, vcc, v0, v141, vcc
	v_add_co_u32_e32 v0, vcc, v1, v168
	v_addc_co_u32_e32 v1, vcc, 0, v2, vcc
	v_mov_b32_e32 v2, s9
	v_add_co_u32_e32 v3, vcc, s8, v142
	v_addc_co_u32_e32 v4, vcc, v2, v143, vcc
	v_add_co_u32_e32 v2, vcc, v3, v168
	v_addc_co_u32_e32 v3, vcc, 0, v4, vcc
	;; [unrolled: 5-line block ×3, first 2 shown]
	v_mov_b32_e32 v6, s9
	v_add_co_u32_e32 v7, vcc, s8, v146
	v_addc_co_u32_e32 v16, vcc, v6, v147, vcc
	v_add_co_u32_e32 v6, vcc, v7, v168
	global_load_dwordx4 v[8:11], v[0:1], off
	global_load_dwordx4 v[12:15], v[2:3], off
	v_addc_co_u32_e32 v7, vcc, 0, v16, vcc
	global_load_dwordx4 v[16:19], v[4:5], off
	global_load_dwordx4 v[20:23], v[6:7], off
	s_waitcnt vmcnt(3)
	ds_write_b128 v155, v[8:11]
	s_waitcnt vmcnt(2)
	ds_write_b128 v156, v[12:15]
	;; [unrolled: 2-line block ×4, first 2 shown]
	s_waitcnt lgkmcnt(0)
	s_barrier
	ds_read_b128 v[10:13], v160
	ds_read_b128 v[14:17], v159
	v_mov_b32_e32 v8, 0
	ds_read_b128 v[18:21], v160 offset:4608
	s_waitcnt lgkmcnt(1)
	;;#ASMSTART
	v_dot2_f32_f16 v8, v10, v14, v8
	;;#ASMEND
	;;#ASMSTART
	v_dot2_f32_f16 v8, v11, v15, v8
	;;#ASMEND
	v_mov_b32_e32 v9, 0
	;;#ASMSTART
	v_dot2_f32_f16 v8, v12, v16, v8
	;;#ASMEND
	;;#ASMSTART
	v_dot2_f32_f16 v8, v13, v17, v8
	;;#ASMEND
	s_waitcnt lgkmcnt(0)
	;;#ASMSTART
	v_dot2_f32_f16 v9, v18, v14, v9
	;;#ASMEND
	;;#ASMSTART
	v_dot2_f32_f16 v9, v19, v15, v9
	;;#ASMEND
	;;#ASMSTART
	v_dot2_f32_f16 v9, v20, v16, v9
	;;#ASMEND
	;;#ASMSTART
	v_dot2_f32_f16 v9, v21, v17, v9
	;;#ASMEND
	ds_read_b128 v[10:13], v160 offset:16
	ds_read_b128 v[14:17], v159 offset:16
	ds_read_b128 v[18:21], v160 offset:4624
	s_waitcnt lgkmcnt(1)
	;;#ASMSTART
	v_dot2_f32_f16 v8, v10, v14, v8
	;;#ASMEND
	;;#ASMSTART
	v_dot2_f32_f16 v8, v11, v15, v8
	;;#ASMEND
	;;#ASMSTART
	v_dot2_f32_f16 v8, v12, v16, v8
	;;#ASMEND
	;;#ASMSTART
	v_dot2_f32_f16 v8, v13, v17, v8
	;;#ASMEND
	s_waitcnt lgkmcnt(0)
	;;#ASMSTART
	v_dot2_f32_f16 v9, v18, v14, v9
	;;#ASMEND
	;;#ASMSTART
	v_dot2_f32_f16 v9, v19, v15, v9
	;;#ASMEND
	;;#ASMSTART
	v_dot2_f32_f16 v9, v20, v16, v9
	;;#ASMEND
	;;#ASMSTART
	v_dot2_f32_f16 v9, v21, v17, v9
	;;#ASMEND
	ds_read_b128 v[10:13], v160 offset:32
	ds_read_b128 v[14:17], v159 offset:32
	ds_read_b128 v[18:21], v160 offset:4640
	s_waitcnt lgkmcnt(1)
	;;#ASMSTART
	v_dot2_f32_f16 v8, v10, v14, v8
	;;#ASMEND
	;;#ASMSTART
	v_dot2_f32_f16 v8, v11, v15, v8
	;;#ASMEND
	;; [unrolled: 29-line block ×7, first 2 shown]
	;;#ASMSTART
	v_dot2_f32_f16 v8, v12, v16, v8
	;;#ASMEND
	;;#ASMSTART
	v_dot2_f32_f16 v8, v13, v17, v8
	;;#ASMEND
	s_waitcnt lgkmcnt(0)
	;;#ASMSTART
	v_dot2_f32_f16 v9, v18, v14, v9
	;;#ASMEND
	;;#ASMSTART
	v_dot2_f32_f16 v9, v19, v15, v9
	;;#ASMEND
	;;#ASMSTART
	v_dot2_f32_f16 v9, v20, v16, v9
	;;#ASMEND
	;;#ASMSTART
	v_dot2_f32_f16 v9, v21, v17, v9
	;;#ASMEND
	s_barrier
	global_load_dwordx4 v[10:13], v[0:1], off offset:128
	global_load_dwordx4 v[14:17], v[2:3], off offset:128
	;; [unrolled: 1-line block ×4, first 2 shown]
	s_waitcnt vmcnt(3)
	ds_write_b128 v155, v[10:13]
	s_waitcnt vmcnt(2)
	ds_write_b128 v156, v[14:17]
	;; [unrolled: 2-line block ×4, first 2 shown]
	s_waitcnt lgkmcnt(0)
	s_barrier
	ds_read_b128 v[10:13], v160
	ds_read_b128 v[14:17], v159 offset:128
	ds_read_b128 v[18:21], v160 offset:4608
	s_waitcnt lgkmcnt(1)
	;;#ASMSTART
	v_dot2_f32_f16 v8, v10, v14, v8
	;;#ASMEND
	;;#ASMSTART
	v_dot2_f32_f16 v8, v11, v15, v8
	;;#ASMEND
	;;#ASMSTART
	v_dot2_f32_f16 v8, v12, v16, v8
	;;#ASMEND
	;;#ASMSTART
	v_dot2_f32_f16 v8, v13, v17, v8
	;;#ASMEND
	s_waitcnt lgkmcnt(0)
	;;#ASMSTART
	v_dot2_f32_f16 v9, v18, v14, v9
	;;#ASMEND
	;;#ASMSTART
	v_dot2_f32_f16 v9, v19, v15, v9
	;;#ASMEND
	;;#ASMSTART
	v_dot2_f32_f16 v9, v20, v16, v9
	;;#ASMEND
	;;#ASMSTART
	v_dot2_f32_f16 v9, v21, v17, v9
	;;#ASMEND
	ds_read_b128 v[10:13], v160 offset:16
	ds_read_b128 v[14:17], v159 offset:144
	ds_read_b128 v[18:21], v160 offset:4624
	s_waitcnt lgkmcnt(1)
	;;#ASMSTART
	v_dot2_f32_f16 v8, v10, v14, v8
	;;#ASMEND
	;;#ASMSTART
	v_dot2_f32_f16 v8, v11, v15, v8
	;;#ASMEND
	;;#ASMSTART
	v_dot2_f32_f16 v8, v12, v16, v8
	;;#ASMEND
	;;#ASMSTART
	v_dot2_f32_f16 v8, v13, v17, v8
	;;#ASMEND
	s_waitcnt lgkmcnt(0)
	;;#ASMSTART
	v_dot2_f32_f16 v9, v18, v14, v9
	;;#ASMEND
	;;#ASMSTART
	v_dot2_f32_f16 v9, v19, v15, v9
	;;#ASMEND
	;;#ASMSTART
	v_dot2_f32_f16 v9, v20, v16, v9
	;;#ASMEND
	;;#ASMSTART
	v_dot2_f32_f16 v9, v21, v17, v9
	;;#ASMEND
	ds_read_b128 v[10:13], v160 offset:32
	;; [unrolled: 29-line block ×7, first 2 shown]
	ds_read_b128 v[14:17], v159 offset:240
	ds_read_b128 v[18:21], v160 offset:4720
	s_waitcnt lgkmcnt(1)
	;;#ASMSTART
	v_dot2_f32_f16 v8, v10, v14, v8
	;;#ASMEND
	;;#ASMSTART
	v_dot2_f32_f16 v8, v11, v15, v8
	;;#ASMEND
	;; [unrolled: 3-line block ×4, first 2 shown]
	s_waitcnt lgkmcnt(0)
	;;#ASMSTART
	v_dot2_f32_f16 v9, v18, v14, v9
	;;#ASMEND
	;;#ASMSTART
	v_dot2_f32_f16 v9, v19, v15, v9
	;;#ASMEND
	;; [unrolled: 3-line block ×4, first 2 shown]
	s_barrier
	global_load_dwordx4 v[10:13], v[0:1], off offset:256
	global_load_dwordx4 v[14:17], v[2:3], off offset:256
	;; [unrolled: 1-line block ×4, first 2 shown]
	s_waitcnt vmcnt(3)
	ds_write_b128 v155, v[10:13]
	s_waitcnt vmcnt(2)
	ds_write_b128 v156, v[14:17]
	;; [unrolled: 2-line block ×4, first 2 shown]
	s_waitcnt lgkmcnt(0)
	s_barrier
	ds_read_b128 v[10:13], v160
	ds_read_b128 v[14:17], v159 offset:256
	ds_read_b128 v[18:21], v160 offset:4608
	s_waitcnt lgkmcnt(1)
	;;#ASMSTART
	v_dot2_f32_f16 v8, v10, v14, v8
	;;#ASMEND
	;;#ASMSTART
	v_dot2_f32_f16 v8, v11, v15, v8
	;;#ASMEND
	;;#ASMSTART
	v_dot2_f32_f16 v8, v12, v16, v8
	;;#ASMEND
	;;#ASMSTART
	v_dot2_f32_f16 v8, v13, v17, v8
	;;#ASMEND
	s_waitcnt lgkmcnt(0)
	;;#ASMSTART
	v_dot2_f32_f16 v9, v18, v14, v9
	;;#ASMEND
	;;#ASMSTART
	v_dot2_f32_f16 v9, v19, v15, v9
	;;#ASMEND
	;;#ASMSTART
	v_dot2_f32_f16 v9, v20, v16, v9
	;;#ASMEND
	;;#ASMSTART
	v_dot2_f32_f16 v9, v21, v17, v9
	;;#ASMEND
	ds_read_b128 v[10:13], v160 offset:16
	ds_read_b128 v[14:17], v159 offset:272
	ds_read_b128 v[18:21], v160 offset:4624
	s_waitcnt lgkmcnt(1)
	;;#ASMSTART
	v_dot2_f32_f16 v8, v10, v14, v8
	;;#ASMEND
	;;#ASMSTART
	v_dot2_f32_f16 v8, v11, v15, v8
	;;#ASMEND
	;;#ASMSTART
	v_dot2_f32_f16 v8, v12, v16, v8
	;;#ASMEND
	;;#ASMSTART
	v_dot2_f32_f16 v8, v13, v17, v8
	;;#ASMEND
	s_waitcnt lgkmcnt(0)
	;;#ASMSTART
	v_dot2_f32_f16 v9, v18, v14, v9
	;;#ASMEND
	;;#ASMSTART
	v_dot2_f32_f16 v9, v19, v15, v9
	;;#ASMEND
	;;#ASMSTART
	v_dot2_f32_f16 v9, v20, v16, v9
	;;#ASMEND
	;;#ASMSTART
	v_dot2_f32_f16 v9, v21, v17, v9
	;;#ASMEND
	ds_read_b128 v[10:13], v160 offset:32
	;; [unrolled: 29-line block ×7, first 2 shown]
	ds_read_b128 v[14:17], v159 offset:368
	ds_read_b128 v[18:21], v160 offset:4720
	s_waitcnt lgkmcnt(1)
	;;#ASMSTART
	v_dot2_f32_f16 v8, v10, v14, v8
	;;#ASMEND
	;;#ASMSTART
	v_dot2_f32_f16 v8, v11, v15, v8
	;;#ASMEND
	;; [unrolled: 3-line block ×4, first 2 shown]
	s_waitcnt lgkmcnt(0)
	;;#ASMSTART
	v_dot2_f32_f16 v9, v18, v14, v9
	;;#ASMEND
	;;#ASMSTART
	v_dot2_f32_f16 v9, v19, v15, v9
	;;#ASMEND
	;;#ASMSTART
	v_dot2_f32_f16 v9, v20, v16, v9
	;;#ASMEND
	;;#ASMSTART
	v_dot2_f32_f16 v9, v21, v17, v9
	;;#ASMEND
	s_barrier
	global_load_dwordx4 v[10:13], v[0:1], off offset:384
	global_load_dwordx4 v[14:17], v[2:3], off offset:384
	;; [unrolled: 1-line block ×4, first 2 shown]
	s_waitcnt vmcnt(3)
	ds_write_b128 v155, v[10:13]
	s_waitcnt vmcnt(2)
	ds_write_b128 v156, v[14:17]
	;; [unrolled: 2-line block ×4, first 2 shown]
	s_waitcnt lgkmcnt(0)
	s_barrier
	ds_read_b128 v[10:13], v160
	ds_read_b128 v[14:17], v159 offset:384
	ds_read_b128 v[18:21], v160 offset:4608
	s_waitcnt lgkmcnt(1)
	;;#ASMSTART
	v_dot2_f32_f16 v8, v10, v14, v8
	;;#ASMEND
	;;#ASMSTART
	v_dot2_f32_f16 v8, v11, v15, v8
	;;#ASMEND
	;;#ASMSTART
	v_dot2_f32_f16 v8, v12, v16, v8
	;;#ASMEND
	;;#ASMSTART
	v_dot2_f32_f16 v8, v13, v17, v8
	;;#ASMEND
	s_waitcnt lgkmcnt(0)
	;;#ASMSTART
	v_dot2_f32_f16 v9, v18, v14, v9
	;;#ASMEND
	;;#ASMSTART
	v_dot2_f32_f16 v9, v19, v15, v9
	;;#ASMEND
	;;#ASMSTART
	v_dot2_f32_f16 v9, v20, v16, v9
	;;#ASMEND
	;;#ASMSTART
	v_dot2_f32_f16 v9, v21, v17, v9
	;;#ASMEND
	ds_read_b128 v[10:13], v160 offset:16
	ds_read_b128 v[14:17], v159 offset:400
	ds_read_b128 v[18:21], v160 offset:4624
	s_waitcnt lgkmcnt(1)
	;;#ASMSTART
	v_dot2_f32_f16 v8, v10, v14, v8
	;;#ASMEND
	;;#ASMSTART
	v_dot2_f32_f16 v8, v11, v15, v8
	;;#ASMEND
	;;#ASMSTART
	v_dot2_f32_f16 v8, v12, v16, v8
	;;#ASMEND
	;;#ASMSTART
	v_dot2_f32_f16 v8, v13, v17, v8
	;;#ASMEND
	s_waitcnt lgkmcnt(0)
	;;#ASMSTART
	v_dot2_f32_f16 v9, v18, v14, v9
	;;#ASMEND
	;;#ASMSTART
	v_dot2_f32_f16 v9, v19, v15, v9
	;;#ASMEND
	;;#ASMSTART
	v_dot2_f32_f16 v9, v20, v16, v9
	;;#ASMEND
	;;#ASMSTART
	v_dot2_f32_f16 v9, v21, v17, v9
	;;#ASMEND
	ds_read_b128 v[10:13], v160 offset:32
	;; [unrolled: 29-line block ×7, first 2 shown]
	ds_read_b128 v[14:17], v159 offset:496
	ds_read_b128 v[18:21], v160 offset:4720
	s_waitcnt lgkmcnt(1)
	;;#ASMSTART
	v_dot2_f32_f16 v8, v10, v14, v8
	;;#ASMEND
	;;#ASMSTART
	v_dot2_f32_f16 v8, v11, v15, v8
	;;#ASMEND
	;; [unrolled: 3-line block ×4, first 2 shown]
	s_waitcnt lgkmcnt(0)
	;;#ASMSTART
	v_dot2_f32_f16 v9, v18, v14, v9
	;;#ASMEND
	;;#ASMSTART
	v_dot2_f32_f16 v9, v19, v15, v9
	;;#ASMEND
	;; [unrolled: 3-line block ×4, first 2 shown]
	s_barrier
	global_load_dwordx4 v[10:13], v[0:1], off offset:512
	global_load_dwordx4 v[14:17], v[2:3], off offset:512
	;; [unrolled: 1-line block ×4, first 2 shown]
	s_waitcnt vmcnt(3)
	ds_write_b128 v155, v[10:13]
	s_waitcnt vmcnt(2)
	ds_write_b128 v156, v[14:17]
	;; [unrolled: 2-line block ×4, first 2 shown]
	s_waitcnt lgkmcnt(0)
	s_barrier
	ds_read_b128 v[10:13], v160
	ds_read_b128 v[14:17], v159 offset:512
	ds_read_b128 v[18:21], v160 offset:4608
	s_waitcnt lgkmcnt(1)
	;;#ASMSTART
	v_dot2_f32_f16 v8, v10, v14, v8
	;;#ASMEND
	;;#ASMSTART
	v_dot2_f32_f16 v8, v11, v15, v8
	;;#ASMEND
	;;#ASMSTART
	v_dot2_f32_f16 v8, v12, v16, v8
	;;#ASMEND
	;;#ASMSTART
	v_dot2_f32_f16 v8, v13, v17, v8
	;;#ASMEND
	s_waitcnt lgkmcnt(0)
	;;#ASMSTART
	v_dot2_f32_f16 v9, v18, v14, v9
	;;#ASMEND
	;;#ASMSTART
	v_dot2_f32_f16 v9, v19, v15, v9
	;;#ASMEND
	;;#ASMSTART
	v_dot2_f32_f16 v9, v20, v16, v9
	;;#ASMEND
	;;#ASMSTART
	v_dot2_f32_f16 v9, v21, v17, v9
	;;#ASMEND
	ds_read_b128 v[10:13], v160 offset:16
	ds_read_b128 v[14:17], v159 offset:528
	ds_read_b128 v[18:21], v160 offset:4624
	s_waitcnt lgkmcnt(1)
	;;#ASMSTART
	v_dot2_f32_f16 v8, v10, v14, v8
	;;#ASMEND
	;;#ASMSTART
	v_dot2_f32_f16 v8, v11, v15, v8
	;;#ASMEND
	;;#ASMSTART
	v_dot2_f32_f16 v8, v12, v16, v8
	;;#ASMEND
	;;#ASMSTART
	v_dot2_f32_f16 v8, v13, v17, v8
	;;#ASMEND
	s_waitcnt lgkmcnt(0)
	;;#ASMSTART
	v_dot2_f32_f16 v9, v18, v14, v9
	;;#ASMEND
	;;#ASMSTART
	v_dot2_f32_f16 v9, v19, v15, v9
	;;#ASMEND
	;;#ASMSTART
	v_dot2_f32_f16 v9, v20, v16, v9
	;;#ASMEND
	;;#ASMSTART
	v_dot2_f32_f16 v9, v21, v17, v9
	;;#ASMEND
	ds_read_b128 v[10:13], v160 offset:32
	;; [unrolled: 29-line block ×7, first 2 shown]
	ds_read_b128 v[14:17], v159 offset:624
	ds_read_b128 v[18:21], v160 offset:4720
	s_waitcnt lgkmcnt(1)
	;;#ASMSTART
	v_dot2_f32_f16 v8, v10, v14, v8
	;;#ASMEND
	;;#ASMSTART
	v_dot2_f32_f16 v8, v11, v15, v8
	;;#ASMEND
	;; [unrolled: 3-line block ×4, first 2 shown]
	s_waitcnt lgkmcnt(0)
	;;#ASMSTART
	v_dot2_f32_f16 v9, v18, v14, v9
	;;#ASMEND
	;;#ASMSTART
	v_dot2_f32_f16 v9, v19, v15, v9
	;;#ASMEND
	;; [unrolled: 3-line block ×4, first 2 shown]
	s_barrier
	global_load_dwordx4 v[10:13], v[0:1], off offset:640
	global_load_dwordx4 v[14:17], v[2:3], off offset:640
	;; [unrolled: 1-line block ×4, first 2 shown]
	s_waitcnt vmcnt(3)
	ds_write_b128 v155, v[10:13]
	s_waitcnt vmcnt(2)
	ds_write_b128 v156, v[14:17]
	s_waitcnt vmcnt(1)
	ds_write_b128 v157, v[18:21]
	s_waitcnt vmcnt(0)
	ds_write_b128 v158, v[22:25]
	s_waitcnt lgkmcnt(0)
	s_barrier
	ds_read_b128 v[10:13], v160
	ds_read_b128 v[14:17], v159 offset:640
	ds_read_b128 v[18:21], v160 offset:4608
	s_waitcnt lgkmcnt(1)
	;;#ASMSTART
	v_dot2_f32_f16 v8, v10, v14, v8
	;;#ASMEND
	;;#ASMSTART
	v_dot2_f32_f16 v8, v11, v15, v8
	;;#ASMEND
	;;#ASMSTART
	v_dot2_f32_f16 v8, v12, v16, v8
	;;#ASMEND
	;;#ASMSTART
	v_dot2_f32_f16 v8, v13, v17, v8
	;;#ASMEND
	s_waitcnt lgkmcnt(0)
	;;#ASMSTART
	v_dot2_f32_f16 v9, v18, v14, v9
	;;#ASMEND
	;;#ASMSTART
	v_dot2_f32_f16 v9, v19, v15, v9
	;;#ASMEND
	;;#ASMSTART
	v_dot2_f32_f16 v9, v20, v16, v9
	;;#ASMEND
	;;#ASMSTART
	v_dot2_f32_f16 v9, v21, v17, v9
	;;#ASMEND
	ds_read_b128 v[10:13], v160 offset:16
	ds_read_b128 v[14:17], v159 offset:656
	ds_read_b128 v[18:21], v160 offset:4624
	s_waitcnt lgkmcnt(1)
	;;#ASMSTART
	v_dot2_f32_f16 v8, v10, v14, v8
	;;#ASMEND
	;;#ASMSTART
	v_dot2_f32_f16 v8, v11, v15, v8
	;;#ASMEND
	;;#ASMSTART
	v_dot2_f32_f16 v8, v12, v16, v8
	;;#ASMEND
	;;#ASMSTART
	v_dot2_f32_f16 v8, v13, v17, v8
	;;#ASMEND
	s_waitcnt lgkmcnt(0)
	;;#ASMSTART
	v_dot2_f32_f16 v9, v18, v14, v9
	;;#ASMEND
	;;#ASMSTART
	v_dot2_f32_f16 v9, v19, v15, v9
	;;#ASMEND
	;;#ASMSTART
	v_dot2_f32_f16 v9, v20, v16, v9
	;;#ASMEND
	;;#ASMSTART
	v_dot2_f32_f16 v9, v21, v17, v9
	;;#ASMEND
	ds_read_b128 v[10:13], v160 offset:32
	;; [unrolled: 29-line block ×7, first 2 shown]
	ds_read_b128 v[14:17], v159 offset:752
	ds_read_b128 v[18:21], v160 offset:4720
	s_waitcnt lgkmcnt(1)
	;;#ASMSTART
	v_dot2_f32_f16 v8, v10, v14, v8
	;;#ASMEND
	;;#ASMSTART
	v_dot2_f32_f16 v8, v11, v15, v8
	;;#ASMEND
	;; [unrolled: 3-line block ×4, first 2 shown]
	s_waitcnt lgkmcnt(0)
	;;#ASMSTART
	v_dot2_f32_f16 v9, v18, v14, v9
	;;#ASMEND
	;;#ASMSTART
	v_dot2_f32_f16 v9, v19, v15, v9
	;;#ASMEND
	;; [unrolled: 3-line block ×4, first 2 shown]
	s_barrier
	global_load_dwordx4 v[10:13], v[0:1], off offset:768
	global_load_dwordx4 v[14:17], v[2:3], off offset:768
	;; [unrolled: 1-line block ×4, first 2 shown]
	s_waitcnt vmcnt(3)
	ds_write_b128 v155, v[10:13]
	s_waitcnt vmcnt(2)
	ds_write_b128 v156, v[14:17]
	;; [unrolled: 2-line block ×4, first 2 shown]
	s_waitcnt lgkmcnt(0)
	s_barrier
	ds_read_b128 v[10:13], v160
	ds_read_b128 v[14:17], v159 offset:768
	ds_read_b128 v[18:21], v160 offset:4608
	s_waitcnt lgkmcnt(1)
	;;#ASMSTART
	v_dot2_f32_f16 v8, v10, v14, v8
	;;#ASMEND
	;;#ASMSTART
	v_dot2_f32_f16 v8, v11, v15, v8
	;;#ASMEND
	;;#ASMSTART
	v_dot2_f32_f16 v8, v12, v16, v8
	;;#ASMEND
	;;#ASMSTART
	v_dot2_f32_f16 v8, v13, v17, v8
	;;#ASMEND
	s_waitcnt lgkmcnt(0)
	;;#ASMSTART
	v_dot2_f32_f16 v9, v18, v14, v9
	;;#ASMEND
	;;#ASMSTART
	v_dot2_f32_f16 v9, v19, v15, v9
	;;#ASMEND
	;;#ASMSTART
	v_dot2_f32_f16 v9, v20, v16, v9
	;;#ASMEND
	;;#ASMSTART
	v_dot2_f32_f16 v9, v21, v17, v9
	;;#ASMEND
	ds_read_b128 v[10:13], v160 offset:16
	ds_read_b128 v[14:17], v159 offset:784
	ds_read_b128 v[18:21], v160 offset:4624
	s_waitcnt lgkmcnt(1)
	;;#ASMSTART
	v_dot2_f32_f16 v8, v10, v14, v8
	;;#ASMEND
	;;#ASMSTART
	v_dot2_f32_f16 v8, v11, v15, v8
	;;#ASMEND
	;;#ASMSTART
	v_dot2_f32_f16 v8, v12, v16, v8
	;;#ASMEND
	;;#ASMSTART
	v_dot2_f32_f16 v8, v13, v17, v8
	;;#ASMEND
	s_waitcnt lgkmcnt(0)
	;;#ASMSTART
	v_dot2_f32_f16 v9, v18, v14, v9
	;;#ASMEND
	;;#ASMSTART
	v_dot2_f32_f16 v9, v19, v15, v9
	;;#ASMEND
	;;#ASMSTART
	v_dot2_f32_f16 v9, v20, v16, v9
	;;#ASMEND
	;;#ASMSTART
	v_dot2_f32_f16 v9, v21, v17, v9
	;;#ASMEND
	ds_read_b128 v[10:13], v160 offset:32
	;; [unrolled: 29-line block ×7, first 2 shown]
	ds_read_b128 v[14:17], v159 offset:880
	ds_read_b128 v[18:21], v160 offset:4720
	s_waitcnt lgkmcnt(1)
	;;#ASMSTART
	v_dot2_f32_f16 v8, v10, v14, v8
	;;#ASMEND
	;;#ASMSTART
	v_dot2_f32_f16 v8, v11, v15, v8
	;;#ASMEND
	;; [unrolled: 3-line block ×4, first 2 shown]
	s_waitcnt lgkmcnt(0)
	;;#ASMSTART
	v_dot2_f32_f16 v9, v18, v14, v9
	;;#ASMEND
	;;#ASMSTART
	v_dot2_f32_f16 v9, v19, v15, v9
	;;#ASMEND
	;; [unrolled: 3-line block ×4, first 2 shown]
	s_barrier
	global_load_dwordx4 v[10:13], v[0:1], off offset:896
	global_load_dwordx4 v[14:17], v[2:3], off offset:896
	global_load_dwordx4 v[18:21], v[4:5], off offset:896
	global_load_dwordx4 v[22:25], v[6:7], off offset:896
	s_waitcnt vmcnt(3)
	ds_write_b128 v155, v[10:13]
	s_waitcnt vmcnt(2)
	ds_write_b128 v156, v[14:17]
	;; [unrolled: 2-line block ×4, first 2 shown]
	s_waitcnt lgkmcnt(0)
	s_barrier
	ds_read_b128 v[0:3], v160
	ds_read_b128 v[4:7], v159 offset:896
	ds_read_b128 v[10:13], v160 offset:4608
	s_waitcnt lgkmcnt(1)
	;;#ASMSTART
	v_dot2_f32_f16 v8, v0, v4, v8
	;;#ASMEND
	;;#ASMSTART
	v_dot2_f32_f16 v8, v1, v5, v8
	;;#ASMEND
	;;#ASMSTART
	v_dot2_f32_f16 v8, v2, v6, v8
	;;#ASMEND
	;;#ASMSTART
	v_dot2_f32_f16 v8, v3, v7, v8
	;;#ASMEND
	s_waitcnt lgkmcnt(0)
	;;#ASMSTART
	v_dot2_f32_f16 v9, v10, v4, v9
	;;#ASMEND
	;;#ASMSTART
	v_dot2_f32_f16 v9, v11, v5, v9
	;;#ASMEND
	;;#ASMSTART
	v_dot2_f32_f16 v9, v12, v6, v9
	;;#ASMEND
	;;#ASMSTART
	v_dot2_f32_f16 v9, v13, v7, v9
	;;#ASMEND
	ds_read_b128 v[0:3], v160 offset:16
	ds_read_b128 v[4:7], v159 offset:912
	ds_read_b128 v[10:13], v160 offset:4624
	s_waitcnt lgkmcnt(1)
	;;#ASMSTART
	v_dot2_f32_f16 v8, v0, v4, v8
	;;#ASMEND
	;;#ASMSTART
	v_dot2_f32_f16 v8, v1, v5, v8
	;;#ASMEND
	;;#ASMSTART
	v_dot2_f32_f16 v8, v2, v6, v8
	;;#ASMEND
	;;#ASMSTART
	v_dot2_f32_f16 v8, v3, v7, v8
	;;#ASMEND
	s_waitcnt lgkmcnt(0)
	;;#ASMSTART
	v_dot2_f32_f16 v9, v10, v4, v9
	;;#ASMEND
	;;#ASMSTART
	v_dot2_f32_f16 v9, v11, v5, v9
	;;#ASMEND
	;;#ASMSTART
	v_dot2_f32_f16 v9, v12, v6, v9
	;;#ASMEND
	;;#ASMSTART
	v_dot2_f32_f16 v9, v13, v7, v9
	;;#ASMEND
	ds_read_b128 v[0:3], v160 offset:32
	;; [unrolled: 29-line block ×7, first 2 shown]
	ds_read_b128 v[4:7], v159 offset:1008
	ds_read_b128 v[10:13], v160 offset:4720
	s_waitcnt lgkmcnt(1)
	;;#ASMSTART
	v_dot2_f32_f16 v8, v0, v4, v8
	;;#ASMEND
	;;#ASMSTART
	v_dot2_f32_f16 v8, v1, v5, v8
	;;#ASMEND
	;; [unrolled: 3-line block ×4, first 2 shown]
	s_waitcnt lgkmcnt(0)
	;;#ASMSTART
	v_dot2_f32_f16 v9, v10, v4, v9
	;;#ASMEND
	;;#ASMSTART
	v_dot2_f32_f16 v9, v11, v5, v9
	;;#ASMEND
	;; [unrolled: 3-line block ×3, first 2 shown]
	v_cmp_nlt_f32_e64 s[8:9], |v8|, s19
	;;#ASMSTART
	v_dot2_f32_f16 v9, v13, v7, v9
	;;#ASMEND
                                        ; implicit-def: $vgpr3
	s_and_saveexec_b64 s[34:35], s[8:9]
	s_xor_b64 s[8:9], exec, s[34:35]
	s_cbranch_execz .LBB32_11
; %bb.10:                               ;   in Loop: Header=BB32_9 Depth=1
	v_add_f32_e64 v0, |v8|, |v8|
	v_mul_f32_e32 v1, 0x3fb8aa3b, v0
	v_rndne_f32_e32 v2, v1
	v_sub_f32_e32 v3, v1, v2
	v_fma_f32 v1, v0, s24, -v1
	v_fmac_f32_e32 v1, 0x32a5705f, v0
	v_add_f32_e32 v1, v3, v1
	v_cvt_i32_f32_e32 v2, v2
	v_exp_f32_e32 v1, v1
	v_cmp_ngt_f32_e32 vcc, s25, v0
	v_ldexp_f32 v1, v1, v2
	v_cndmask_b32_e32 v1, 0, v1, vcc
	v_cmp_nlt_f32_e32 vcc, s26, v0
	v_cndmask_b32_e32 v0, v172, v1, vcc
	v_add_f32_e32 v0, 1.0, v0
	v_rcp_f32_e32 v0, v0
	v_fma_f32 v3, v0, -2.0, 1.0
.LBB32_11:                              ;   in Loop: Header=BB32_9 Depth=1
	s_andn2_saveexec_b64 s[8:9], s[8:9]
; %bb.12:                               ;   in Loop: Header=BB32_9 Depth=1
	v_mul_f32_e32 v0, v8, v8
	v_mov_b32_e32 v1, 0x3ca908c9
	v_fmac_f32_e32 v1, 0xbbbac73d, v0
	v_fma_f32 v1, v0, v1, v169
	v_fma_f32 v1, v0, v1, v170
	v_fma_f32 v1, v0, v1, v171
	v_mul_f32_e64 v1, |v8|, v1
	v_fma_f32 v3, v0, v1, |v8|
; %bb.13:                               ;   in Loop: Header=BB32_9 Depth=1
	s_or_b64 exec, exec, s[8:9]
	v_add_u32_e32 v0, s6, v138
	v_ashrrev_i32_e32 v1, 31, v0
	v_lshlrev_b64 v[0:1], 1, v[0:1]
	v_mov_b32_e32 v2, s31
	v_add_co_u32_e32 v0, vcc, s30, v0
	v_addc_co_u32_e32 v1, vcc, v2, v1, vcc
	flat_load_ushort v2, v[0:1]
	v_cmp_nlt_f32_e64 s[8:9], |v9|, s19
                                        ; implicit-def: $vgpr4
	s_and_saveexec_b64 s[34:35], s[8:9]
	s_xor_b64 s[8:9], exec, s[34:35]
	s_cbranch_execz .LBB32_15
; %bb.14:                               ;   in Loop: Header=BB32_9 Depth=1
	v_add_f32_e64 v4, |v9|, |v9|
	v_mul_f32_e32 v5, 0x3fb8aa3b, v4
	v_rndne_f32_e32 v6, v5
	v_sub_f32_e32 v7, v5, v6
	v_fma_f32 v5, v4, s24, -v5
	v_fmac_f32_e32 v5, 0x32a5705f, v4
	v_add_f32_e32 v5, v7, v5
	v_cvt_i32_f32_e32 v6, v6
	v_exp_f32_e32 v5, v5
	v_cmp_ngt_f32_e32 vcc, s25, v4
	v_ldexp_f32 v5, v5, v6
	v_cndmask_b32_e32 v5, 0, v5, vcc
	v_cmp_nlt_f32_e32 vcc, s26, v4
	v_cndmask_b32_e32 v4, v172, v5, vcc
	v_add_f32_e32 v4, 1.0, v4
	v_rcp_f32_e32 v4, v4
	v_fma_f32 v4, v4, -2.0, 1.0
.LBB32_15:                              ;   in Loop: Header=BB32_9 Depth=1
	s_andn2_saveexec_b64 s[8:9], s[8:9]
; %bb.16:                               ;   in Loop: Header=BB32_9 Depth=1
	v_mul_f32_e32 v4, v9, v9
	v_mov_b32_e32 v5, 0x3ca908c9
	v_fmac_f32_e32 v5, 0xbbbac73d, v4
	v_fma_f32 v5, v4, v5, v169
	v_fma_f32 v5, v4, v5, v170
	;; [unrolled: 1-line block ×3, first 2 shown]
	v_mul_f32_e64 v5, |v9|, v5
	v_fma_f32 v4, v4, v5, |v9|
; %bb.17:                               ;   in Loop: Header=BB32_9 Depth=1
	s_or_b64 exec, exec, s[8:9]
	flat_load_ushort v20, v[0:1] offset:64
	s_mul_hi_i32 s9, s6, s15
	s_mul_i32 s8, s6, s15
	s_lshl_b64 s[8:9], s[8:9], 2
	s_add_u32 s8, s12, s8
	v_bfi_b32 v0, s27, v3, v8
	s_addc_u32 s9, s13, s9
	s_waitcnt vmcnt(0) lgkmcnt(0)
	v_fma_mix_f32 v22, v0, s14, v2 op_sel_hi:[0,0,1]
	v_mov_b32_e32 v0, s9
	v_add_co_u32_e32 v2, vcc, s8, v148
	v_and_b32_e32 v1, 0x60, v139
	v_addc_co_u32_e32 v0, vcc, v0, v149, vcc
	v_add_u32_e32 v183, 32, v1
	v_mov_b32_e32 v1, s9
	v_add_co_u32_e32 v3, vcc, s8, v150
	v_lshlrev_b32_e32 v191, 2, v154
	v_addc_co_u32_e32 v1, vcc, v1, v151, vcc
	v_add_co_u32_e32 v16, vcc, v2, v191
	v_addc_co_u32_e32 v17, vcc, 0, v0, vcc
	v_add_co_u32_e32 v18, vcc, v3, v191
	v_bfi_b32 v21, s27, v4, v9
	s_barrier
	v_addc_co_u32_e32 v19, vcc, 0, v1, vcc
	global_load_dwordx4 v[0:3], v[16:17], off
	global_load_dwordx4 v[4:7], v[16:17], off offset:512
	global_load_dwordx4 v[8:11], v[18:19], off
	global_load_dwordx4 v[12:15], v[18:19], off offset:512
	v_xor_b32_e32 v182, 16, v139
	v_cmp_lt_i32_e32 vcc, v182, v183
	v_add_f32_e32 v23, 0x40051340, v22
	v_cndmask_b32_e32 v16, v139, v182, vcc
	v_lshlrev_b32_e32 v16, 2, v16
	v_xor_b32_e32 v184, 8, v139
	v_cmp_lt_i32_e32 vcc, v184, v183
	v_cndmask_b32_e32 v19, v139, v184, vcc
	v_lshlrev_b32_e32 v19, 2, v19
	v_xor_b32_e32 v185, 4, v139
	v_cmp_lt_i32_e32 vcc, v185, v183
	v_xor_b32_e32 v186, 2, v139
	v_xor_b32_e32 v187, 1, v139
	s_or_b32 s8, s6, 8
	s_mul_hi_i32 s9, s8, s15
	s_mul_i32 s8, s8, s15
	s_lshl_b64 s[8:9], s[8:9], 2
	s_add_u32 s8, s12, s8
	s_addc_u32 s9, s13, s9
	v_add_u32_e32 v188, 0x800, v167
	v_add_u32_e32 v190, 0x1000, v167
	;; [unrolled: 1-line block ×3, first 2 shown]
	v_mov_b32_e32 v41, s9
	v_fma_mix_f32 v17, v21, s14, v20 op_sel_hi:[0,0,1]
	v_add_f32_e32 v18, 0x40051340, v17
	v_max3_f32 v18, v40, v23, v18
	ds_bpermute_b32 v16, v16, v18
	s_waitcnt lgkmcnt(0)
	v_max_f32_e32 v16, v16, v16
	v_max_f32_e32 v16, v18, v16
	ds_bpermute_b32 v18, v19, v16
	v_cndmask_b32_e32 v19, v139, v185, vcc
	v_lshlrev_b32_e32 v19, 2, v19
	v_cmp_lt_i32_e32 vcc, v186, v183
	s_waitcnt lgkmcnt(0)
	v_max_f32_e32 v18, v18, v18
	v_max_f32_e32 v16, v16, v18
	ds_bpermute_b32 v18, v19, v16
	v_cndmask_b32_e32 v19, v139, v186, vcc
	v_lshlrev_b32_e32 v19, 2, v19
	v_cmp_lt_i32_e32 vcc, v187, v183
	s_waitcnt lgkmcnt(0)
	v_max_f32_e32 v18, v18, v18
	v_max_f32_e32 v16, v16, v18
	ds_bpermute_b32 v18, v19, v16
	v_cndmask_b32_e32 v19, v139, v187, vcc
	v_lshlrev_b32_e32 v19, 2, v19
	s_waitcnt lgkmcnt(0)
	v_max_f32_e32 v18, v18, v18
	v_max_f32_e32 v16, v16, v18
	ds_bpermute_b32 v18, v19, v16
	s_waitcnt lgkmcnt(0)
	v_max_f32_e32 v18, v18, v18
	v_max_f32_e32 v152, v16, v18
	v_sub_f32_e32 v16, v22, v152
	v_sub_f32_e32 v17, v17, v152
	v_mul_f32_e32 v18, 0x3fb8aa3b, v16
	v_mul_f32_e32 v19, 0x3fb8aa3b, v17
	v_fma_f32 v20, v16, s24, -v18
	v_rndne_f32_e32 v21, v18
	v_fma_f32 v22, v17, s24, -v19
	v_rndne_f32_e32 v23, v19
	v_fmac_f32_e32 v20, 0x32a5705f, v16
	v_sub_f32_e32 v18, v18, v21
	v_fmac_f32_e32 v22, 0x32a5705f, v17
	v_sub_f32_e32 v19, v19, v23
	v_add_f32_e32 v18, v18, v20
	v_cvt_i32_f32_e32 v21, v21
	v_add_f32_e32 v19, v19, v22
	v_exp_f32_e32 v18, v18
	v_cvt_i32_f32_e32 v23, v23
	v_exp_f32_e32 v19, v19
	v_cmp_ngt_f32_e32 vcc, s25, v16
	v_ldexp_f32 v18, v18, v21
	v_cndmask_b32_e32 v18, 0, v18, vcc
	v_ldexp_f32 v19, v19, v23
	v_cmp_ngt_f32_e32 vcc, s25, v17
	v_cndmask_b32_e32 v19, 0, v19, vcc
	v_cmp_nlt_f32_e32 vcc, s26, v16
	v_cndmask_b32_e32 v210, v172, v18, vcc
	v_cmp_nlt_f32_e32 vcc, s26, v17
	v_cndmask_b32_e32 v211, v172, v19, vcc
	v_cvt_f16_f32_e32 v16, v210
	v_cvt_f16_f32_e32 v17, v211
	ds_write_b16 v162, v16
	ds_write_b16 v162, v17 offset:64
	s_waitcnt vmcnt(3)
	ds_write_b128 v163, v[0:3]
	s_waitcnt vmcnt(2)
	ds_write_b128 v164, v[4:7]
	;; [unrolled: 2-line block ×4, first 2 shown]
	v_mov_b32_e32 v4, s9
	v_add_co_u32_e32 v5, vcc, s8, v148
	v_addc_co_u32_e32 v4, vcc, v4, v149, vcc
	v_add_co_u32_e32 v42, vcc, v5, v191
	v_addc_co_u32_e32 v43, vcc, 0, v4, vcc
	s_waitcnt lgkmcnt(0)
	s_barrier
	ds_read2_b64 v[116:119], v167 offset1:32
	ds_read2_b64 v[108:111], v167 offset0:64 offset1:96
	ds_read_b128 v[0:3], v161
	ds_read2_b64 v[100:103], v167 offset0:128 offset1:160
	ds_read2_b64 v[76:79], v167 offset0:192 offset1:224
	ds_read2_b64 v[68:71], v188 offset1:32
	ds_read2_b64 v[60:63], v188 offset0:64 offset1:96
	ds_read2_b64 v[52:55], v188 offset0:128 offset1:160
	ds_read2_b64 v[44:47], v188 offset0:192 offset1:224
	ds_read2_b64 v[36:39], v190 offset1:32
	ds_read2_b64 v[32:35], v190 offset0:64 offset1:96
	;; [unrolled: 4-line block ×3, first 2 shown]
	ds_read2_b64 v[28:31], v189 offset0:128 offset1:160
	ds_read2_b64 v[20:23], v189 offset0:192 offset1:224
	s_waitcnt lgkmcnt(0)
	s_barrier
	global_load_dwordx4 v[4:7], v[42:43], off
	global_load_dwordx4 v[48:51], v[42:43], off offset:512
	v_add_co_u32_e32 v42, vcc, s8, v150
	v_addc_co_u32_e32 v41, vcc, v41, v151, vcc
	v_add_co_u32_e32 v42, vcc, v42, v191
	v_addc_co_u32_e32 v43, vcc, 0, v41, vcc
	global_load_dwordx4 v[56:59], v[42:43], off
	global_load_dwordx4 v[64:67], v[42:43], off offset:512
	v_sub_f32_e32 v40, v40, v152
	v_mul_f32_e32 v41, 0x3fb8aa3b, v40
	v_fma_f32 v42, v40, s24, -v41
	v_rndne_f32_e32 v43, v41
	v_fmac_f32_e32 v42, 0x32a5705f, v40
	v_sub_f32_e32 v41, v41, v43
	v_add_f32_e32 v41, v41, v42
	v_cvt_i32_f32_e32 v43, v43
	v_exp_f32_e32 v41, v41
	s_or_b32 s8, s6, 16
	s_mul_hi_i32 s9, s8, s15
	s_mul_i32 s8, s8, s15
	s_lshl_b64 s[8:9], s[8:9], 2
	s_add_u32 s8, s12, s8
	v_ldexp_f32 v41, v41, v43
	v_cmp_ngt_f32_e32 vcc, s25, v40
	s_addc_u32 s9, s13, s9
	v_cndmask_b32_e32 v41, 0, v41, vcc
	v_cmp_nlt_f32_e32 vcc, s26, v40
	v_mov_b32_e32 v192, s9
	v_cndmask_b32_e32 v212, v172, v41, vcc
	v_add_co_u32_e32 v193, vcc, s8, v148
	v_addc_co_u32_e32 v194, vcc, v192, v149, vcc
	v_add_co_u32_e32 v192, vcc, v193, v191
	v_addc_co_u32_e32 v193, vcc, 0, v194, vcc
	v_cvt_f16_f32_e32 v213, v212
	v_pk_mul_f16 v116, v116, v0 op_sel_hi:[1,0]
	v_pk_mul_f16 v117, v117, v0 op_sel_hi:[1,0]
	s_waitcnt vmcnt(3)
	ds_write_b128 v163, v[4:7]
	s_waitcnt vmcnt(2)
	ds_write_b128 v164, v[48:51]
	;; [unrolled: 2-line block ×4, first 2 shown]
	s_waitcnt lgkmcnt(0)
	s_barrier
	ds_read2_b64 v[132:135], v167 offset1:32
	ds_read2_b64 v[128:131], v167 offset0:64 offset1:96
	ds_read_b128 v[4:7], v161 offset:16
	ds_read2_b64 v[124:127], v167 offset0:128 offset1:160
	ds_read2_b64 v[120:123], v167 offset0:192 offset1:224
	ds_read2_b64 v[112:115], v188 offset1:32
	ds_read2_b64 v[104:107], v188 offset0:64 offset1:96
	ds_read2_b64 v[96:99], v188 offset0:128 offset1:160
	ds_read2_b64 v[92:95], v188 offset0:192 offset1:224
	ds_read2_b64 v[88:91], v190 offset1:32
	ds_read2_b64 v[84:87], v190 offset0:64 offset1:96
	;; [unrolled: 4-line block ×3, first 2 shown]
	ds_read2_b64 v[48:51], v189 offset0:128 offset1:160
	ds_read2_b64 v[40:43], v189 offset0:192 offset1:224
	s_waitcnt lgkmcnt(0)
	s_barrier
	global_load_dwordx4 v[194:197], v[192:193], off
	global_load_dwordx4 v[198:201], v[192:193], off offset:512
	v_mov_b32_e32 v192, s9
	v_add_co_u32_e32 v193, vcc, s8, v150
	v_addc_co_u32_e32 v202, vcc, v192, v151, vcc
	v_add_co_u32_e32 v192, vcc, v193, v191
	v_addc_co_u32_e32 v193, vcc, 0, v202, vcc
	global_load_dwordx4 v[202:205], v[192:193], off
	global_load_dwordx4 v[206:209], v[192:193], off offset:512
	s_or_b32 s8, s6, 24
	s_mul_hi_i32 s9, s8, s15
	s_mul_i32 s8, s8, s15
	s_lshl_b64 s[8:9], s[8:9], 2
	s_add_u32 s8, s12, s8
	v_pk_mul_f16 v175, v213, v175 op_sel_hi:[0,1]
	v_pk_mul_f16 v174, v213, v174 op_sel_hi:[0,1]
	s_addc_u32 s9, s13, s9
	v_pk_mul_f16 v177, v213, v177 op_sel_hi:[0,1]
	v_pk_mul_f16 v178, v213, v178 op_sel_hi:[0,1]
	;; [unrolled: 1-line block ×4, first 2 shown]
	v_pk_fma_f16 v116, v180, v213, v116 op_sel_hi:[1,0,1]
	v_pk_fma_f16 v109, v109, v0, v175 op_sel_hi:[1,0,1]
	v_pk_fma_f16 v110, v110, v0, v174 op_sel_hi:[1,0,1]
	v_mov_b32_e32 v174, s9
	v_add_co_u32_e32 v175, vcc, s8, v148
	v_pk_fma_f16 v117, v179, v213, v117 op_sel_hi:[1,0,1]
	v_pk_fma_f16 v118, v118, v0, v177 op_sel_hi:[1,0,1]
	v_pk_fma_f16 v119, v119, v0, v178 op_sel_hi:[1,0,1]
	v_pk_fma_f16 v108, v108, v0, v176 op_sel_hi:[1,0,1]
	v_pk_fma_f16 v111, v111, v0, v173 op_sel_hi:[1,0,1]
	v_pk_fma_f16 v100, v100, v0, v116 op_sel:[0,1,0]
	v_addc_co_u32_e32 v174, vcc, v174, v149, vcc
	v_pk_fma_f16 v101, v101, v0, v117 op_sel:[0,1,0]
	v_pk_fma_f16 v102, v102, v0, v118 op_sel:[0,1,0]
	;; [unrolled: 1-line block ×7, first 2 shown]
	v_pk_fma_f16 v68, v68, v1, v100 op_sel_hi:[1,0,1]
	v_add_co_u32_e32 v178, vcc, v175, v191
	v_pk_fma_f16 v69, v69, v1, v101 op_sel_hi:[1,0,1]
	v_pk_fma_f16 v70, v70, v1, v102 op_sel_hi:[1,0,1]
	;; [unrolled: 1-line block ×7, first 2 shown]
	v_pk_fma_f16 v52, v52, v1, v68 op_sel:[0,1,0]
	v_addc_co_u32_e32 v179, vcc, 0, v174, vcc
	v_pk_fma_f16 v53, v53, v1, v69 op_sel:[0,1,0]
	v_pk_fma_f16 v54, v54, v1, v70 op_sel:[0,1,0]
	;; [unrolled: 1-line block ×7, first 2 shown]
	v_pk_fma_f16 v1, v36, v2, v52 op_sel_hi:[1,0,1]
	s_waitcnt vmcnt(3)
	ds_write_b128 v163, v[194:197]
	s_waitcnt vmcnt(2)
	ds_write_b128 v164, v[198:201]
	;; [unrolled: 2-line block ×4, first 2 shown]
	v_mov_b32_e32 v194, s9
	v_add_co_u32_e32 v195, vcc, s8, v150
	v_pk_fma_f16 v36, v37, v2, v53 op_sel_hi:[1,0,1]
	v_pk_fma_f16 v37, v38, v2, v54 op_sel_hi:[1,0,1]
	v_pk_fma_f16 v38, v39, v2, v55 op_sel_hi:[1,0,1]
	v_pk_fma_f16 v32, v32, v2, v44 op_sel_hi:[1,0,1]
	v_pk_fma_f16 v33, v33, v2, v45 op_sel_hi:[1,0,1]
	v_pk_fma_f16 v34, v34, v2, v46 op_sel_hi:[1,0,1]
	v_pk_fma_f16 v0, v35, v2, v0 op_sel_hi:[1,0,1]
	v_pk_fma_f16 v1, v24, v2, v1 op_sel:[0,1,0]
	v_addc_co_u32_e32 v194, vcc, v194, v151, vcc
	v_pk_fma_f16 v24, v25, v2, v36 op_sel:[0,1,0]
	v_pk_fma_f16 v25, v26, v2, v37 op_sel:[0,1,0]
	;; [unrolled: 1-line block ×7, first 2 shown]
	v_pk_fma_f16 v1, v12, v3, v1 op_sel_hi:[1,0,1]
	v_add_co_u32_e32 v198, vcc, v195, v191
	v_add_f32_e32 v192, v210, v211
	v_pk_fma_f16 v2, v13, v3, v24 op_sel_hi:[1,0,1]
	v_pk_fma_f16 v12, v14, v3, v25 op_sel_hi:[1,0,1]
	;; [unrolled: 1-line block ×7, first 2 shown]
	v_pk_fma_f16 v1, v28, v3, v1 op_sel:[0,1,0]
	v_addc_co_u32_e32 v199, vcc, 0, v194, vcc
	v_fmac_f32_e32 v192, v181, v212
	v_pk_fma_f16 v173, v29, v3, v2 op_sel:[0,1,0]
	v_pk_fma_f16 v193, v30, v3, v12 op_sel:[0,1,0]
	;; [unrolled: 1-line block ×7, first 2 shown]
	v_pk_fma_f16 v132, v132, v4, v1 op_sel_hi:[1,0,1]
	s_waitcnt lgkmcnt(0)
	s_barrier
	ds_read2_b64 v[100:103], v167 offset1:32
	ds_read2_b64 v[108:111], v167 offset0:64 offset1:96
	ds_read_b128 v[0:3], v161 offset:32
	ds_read2_b64 v[116:119], v167 offset0:128 offset1:160
	ds_read2_b64 v[8:11], v167 offset0:192 offset1:224
	ds_read2_b64 v[16:19], v188 offset1:32
	ds_read2_b64 v[12:15], v188 offset0:64 offset1:96
	ds_read2_b64 v[24:27], v188 offset0:128 offset1:160
	ds_read2_b64 v[20:23], v188 offset0:192 offset1:224
	ds_read2_b64 v[32:35], v190 offset1:32
	ds_read2_b64 v[28:31], v190 offset0:64 offset1:96
	;; [unrolled: 4-line block ×3, first 2 shown]
	ds_read2_b64 v[76:79], v189 offset0:128 offset1:160
	ds_read2_b64 v[68:71], v189 offset0:192 offset1:224
	s_waitcnt lgkmcnt(0)
	s_barrier
	global_load_dwordx4 v[174:177], v[178:179], off
	s_nop 0
	global_load_dwordx4 v[178:181], v[178:179], off offset:512
	s_nop 0
	global_load_dwordx4 v[194:197], v[198:199], off
	s_nop 0
	global_load_dwordx4 v[198:201], v[198:199], off offset:512
	s_or_b32 s8, s6, 32
	s_mul_hi_i32 s9, s8, s15
	s_mul_i32 s8, s8, s15
	s_lshl_b64 s[8:9], s[8:9], 2
	v_pk_fma_f16 v133, v133, v4, v173 op_sel_hi:[1,0,1]
	s_add_u32 s8, s12, s8
	v_pk_fma_f16 v134, v134, v4, v193 op_sel_hi:[1,0,1]
	v_pk_fma_f16 v135, v135, v4, v210 op_sel_hi:[1,0,1]
	;; [unrolled: 1-line block ×3, first 2 shown]
	v_pk_fma_f16 v124, v124, v4, v132 op_sel:[0,1,0]
	v_pk_fma_f16 v125, v125, v4, v133 op_sel:[0,1,0]
	s_addc_u32 s9, s13, s9
	v_pk_fma_f16 v129, v129, v4, v212 op_sel_hi:[1,0,1]
	v_pk_fma_f16 v130, v130, v4, v213 op_sel_hi:[1,0,1]
	;; [unrolled: 1-line block ×3, first 2 shown]
	v_pk_fma_f16 v126, v126, v4, v134 op_sel:[0,1,0]
	v_pk_fma_f16 v127, v127, v4, v135 op_sel:[0,1,0]
	;; [unrolled: 1-line block ×3, first 2 shown]
	v_pk_fma_f16 v112, v112, v5, v124 op_sel_hi:[1,0,1]
	v_pk_fma_f16 v113, v113, v5, v125 op_sel_hi:[1,0,1]
	v_mov_b32_e32 v124, s9
	v_add_co_u32_e32 v125, vcc, s8, v148
	v_pk_fma_f16 v121, v121, v4, v129 op_sel:[0,1,0]
	v_pk_fma_f16 v122, v122, v4, v130 op_sel:[0,1,0]
	;; [unrolled: 1-line block ×3, first 2 shown]
	v_pk_fma_f16 v114, v114, v5, v126 op_sel_hi:[1,0,1]
	v_pk_fma_f16 v115, v115, v5, v127 op_sel_hi:[1,0,1]
	;; [unrolled: 1-line block ×3, first 2 shown]
	v_addc_co_u32_e32 v124, vcc, v124, v149, vcc
	v_pk_fma_f16 v105, v105, v5, v121 op_sel_hi:[1,0,1]
	v_pk_fma_f16 v106, v106, v5, v122 op_sel_hi:[1,0,1]
	;; [unrolled: 1-line block ×3, first 2 shown]
	v_pk_fma_f16 v96, v96, v5, v112 op_sel:[0,1,0]
	v_pk_fma_f16 v97, v97, v5, v113 op_sel:[0,1,0]
	;; [unrolled: 1-line block ×5, first 2 shown]
	v_add_co_u32_e32 v128, vcc, v125, v191
	v_pk_fma_f16 v93, v93, v5, v105 op_sel:[0,1,0]
	v_pk_fma_f16 v94, v94, v5, v106 op_sel:[0,1,0]
	;; [unrolled: 1-line block ×3, first 2 shown]
	v_pk_fma_f16 v5, v88, v6, v96 op_sel_hi:[1,0,1]
	v_pk_fma_f16 v88, v89, v6, v97 op_sel_hi:[1,0,1]
	;; [unrolled: 1-line block ×5, first 2 shown]
	v_addc_co_u32_e32 v129, vcc, 0, v124, vcc
	v_pk_fma_f16 v85, v85, v6, v93 op_sel_hi:[1,0,1]
	v_pk_fma_f16 v86, v86, v6, v94 op_sel_hi:[1,0,1]
	;; [unrolled: 1-line block ×3, first 2 shown]
	v_pk_fma_f16 v5, v80, v6, v5 op_sel:[0,1,0]
	v_pk_fma_f16 v80, v81, v6, v88 op_sel:[0,1,0]
	;; [unrolled: 1-line block ×5, first 2 shown]
	v_mov_b32_e32 v132, s9
	v_add_co_u32_e32 v133, vcc, s8, v150
	v_pk_fma_f16 v73, v73, v6, v85 op_sel:[0,1,0]
	v_pk_fma_f16 v74, v74, v6, v86 op_sel:[0,1,0]
	;; [unrolled: 1-line block ×3, first 2 shown]
	v_pk_fma_f16 v5, v64, v7, v5 op_sel_hi:[1,0,1]
	v_pk_fma_f16 v6, v65, v7, v80 op_sel_hi:[1,0,1]
	;; [unrolled: 1-line block ×5, first 2 shown]
	v_addc_co_u32_e32 v132, vcc, v132, v151, vcc
	v_pk_fma_f16 v57, v57, v7, v73 op_sel_hi:[1,0,1]
	v_pk_fma_f16 v58, v58, v7, v74 op_sel_hi:[1,0,1]
	;; [unrolled: 1-line block ×3, first 2 shown]
	v_pk_fma_f16 v5, v48, v7, v5 op_sel:[0,1,0]
	v_pk_fma_f16 v6, v49, v7, v6 op_sel:[0,1,0]
	;; [unrolled: 1-line block ×5, first 2 shown]
	s_waitcnt vmcnt(3)
	ds_write_b128 v163, v[174:177]
	s_waitcnt vmcnt(2)
	ds_write_b128 v164, v[178:181]
	;; [unrolled: 2-line block ×4, first 2 shown]
	v_add_co_u32_e32 v174, vcc, v133, v191
	v_pk_fma_f16 v41, v41, v7, v57 op_sel:[0,1,0]
	v_pk_fma_f16 v42, v42, v7, v58 op_sel:[0,1,0]
	;; [unrolled: 1-line block ×3, first 2 shown]
	v_pk_fma_f16 v5, v100, v0, v5 op_sel_hi:[1,0,1]
	v_pk_fma_f16 v6, v101, v0, v6 op_sel_hi:[1,0,1]
	;; [unrolled: 1-line block ×5, first 2 shown]
	v_addc_co_u32_e32 v175, vcc, 0, v132, vcc
	v_pk_fma_f16 v173, v109, v0, v41 op_sel_hi:[1,0,1]
	v_pk_fma_f16 v193, v110, v0, v42 op_sel_hi:[1,0,1]
	;; [unrolled: 1-line block ×3, first 2 shown]
	v_pk_fma_f16 v203, v116, v0, v5 op_sel:[0,1,0]
	v_pk_fma_f16 v204, v117, v0, v6 op_sel:[0,1,0]
	;; [unrolled: 1-line block ×5, first 2 shown]
	s_waitcnt lgkmcnt(0)
	s_barrier
	ds_read2_b64 v[100:103], v167 offset1:32
	ds_read2_b64 v[104:107], v167 offset0:64 offset1:96
	ds_read_b128 v[4:7], v161 offset:48
	ds_read2_b64 v[108:111], v167 offset0:128 offset1:160
	ds_read2_b64 v[112:115], v167 offset0:192 offset1:224
	ds_read2_b64 v[116:119], v188 offset1:32
	ds_read2_b64 v[120:123], v188 offset0:64 offset1:96
	ds_read2_b64 v[48:51], v188 offset0:128 offset1:160
	ds_read2_b64 v[40:43], v188 offset0:192 offset1:224
	ds_read2_b64 v[64:67], v190 offset1:32
	ds_read2_b64 v[56:59], v190 offset0:64 offset1:96
	;; [unrolled: 4-line block ×3, first 2 shown]
	ds_read2_b64 v[96:99], v189 offset0:128 offset1:160
	ds_read2_b64 v[92:95], v189 offset0:192 offset1:224
	s_waitcnt lgkmcnt(0)
	s_barrier
	global_load_dwordx4 v[124:127], v[128:129], off
	s_nop 0
	global_load_dwordx4 v[128:131], v[128:129], off offset:512
	s_nop 0
	global_load_dwordx4 v[132:135], v[174:175], off
	s_nop 0
	global_load_dwordx4 v[174:177], v[174:175], off offset:512
	v_pk_fma_f16 v9, v9, v0, v173 op_sel:[0,1,0]
	v_pk_fma_f16 v8, v12, v1, v8 op_sel_hi:[1,0,1]
	v_pk_fma_f16 v9, v13, v1, v9 op_sel_hi:[1,0,1]
	v_pk_fma_f16 v10, v10, v0, v193 op_sel:[0,1,0]
	v_pk_fma_f16 v0, v11, v0, v202 op_sel:[0,1,0]
	v_pk_fma_f16 v11, v16, v1, v203 op_sel_hi:[1,0,1]
	v_pk_fma_f16 v8, v20, v1, v8 op_sel:[0,1,0]
	v_pk_fma_f16 v9, v21, v1, v9 op_sel:[0,1,0]
	v_pk_fma_f16 v16, v17, v1, v204 op_sel_hi:[1,0,1]
	v_pk_fma_f16 v17, v18, v1, v205 op_sel_hi:[1,0,1]
	;; [unrolled: 1-line block ×5, first 2 shown]
	v_pk_fma_f16 v11, v24, v1, v11 op_sel:[0,1,0]
	v_pk_fma_f16 v8, v28, v2, v8 op_sel_hi:[1,0,1]
	v_pk_fma_f16 v9, v29, v2, v9 op_sel_hi:[1,0,1]
	s_or_b32 s8, s6, 40
	v_pk_fma_f16 v12, v25, v1, v16 op_sel:[0,1,0]
	v_pk_fma_f16 v13, v26, v1, v17 op_sel:[0,1,0]
	v_pk_fma_f16 v14, v27, v1, v18 op_sel:[0,1,0]
	v_pk_fma_f16 v10, v22, v1, v10 op_sel:[0,1,0]
	v_pk_fma_f16 v0, v23, v1, v0 op_sel:[0,1,0]
	v_pk_fma_f16 v1, v32, v2, v11 op_sel_hi:[1,0,1]
	v_pk_fma_f16 v8, v36, v2, v8 op_sel:[0,1,0]
	v_pk_fma_f16 v9, v37, v2, v9 op_sel:[0,1,0]
	s_mul_hi_i32 s9, s8, s15
	s_mul_i32 s8, s8, s15
	v_pk_fma_f16 v11, v33, v2, v12 op_sel_hi:[1,0,1]
	v_pk_fma_f16 v1, v44, v2, v1 op_sel:[0,1,0]
	v_pk_fma_f16 v8, v52, v3, v8 op_sel_hi:[1,0,1]
	v_pk_fma_f16 v9, v53, v3, v9 op_sel_hi:[1,0,1]
	s_lshl_b64 s[8:9], s[8:9], 2
	v_pk_fma_f16 v12, v34, v2, v13 op_sel_hi:[1,0,1]
	v_pk_fma_f16 v13, v35, v2, v14 op_sel_hi:[1,0,1]
	;; [unrolled: 1-line block ×4, first 2 shown]
	v_pk_fma_f16 v11, v45, v2, v11 op_sel:[0,1,0]
	v_pk_fma_f16 v1, v60, v3, v1 op_sel_hi:[1,0,1]
	v_pk_fma_f16 v8, v68, v3, v8 op_sel:[0,1,0]
	v_pk_fma_f16 v9, v69, v3, v9 op_sel:[0,1,0]
	s_add_u32 s8, s12, s8
	v_pk_fma_f16 v12, v46, v2, v12 op_sel:[0,1,0]
	v_pk_fma_f16 v13, v47, v2, v13 op_sel:[0,1,0]
	;; [unrolled: 1-line block ×4, first 2 shown]
	v_pk_fma_f16 v2, v61, v3, v11 op_sel_hi:[1,0,1]
	v_pk_fma_f16 v1, v76, v3, v1 op_sel:[0,1,0]
	v_pk_fma_f16 v8, v104, v4, v8 op_sel_hi:[1,0,1]
	v_pk_fma_f16 v9, v105, v4, v9 op_sel_hi:[1,0,1]
	s_addc_u32 s9, s13, s9
	v_pk_fma_f16 v11, v62, v3, v12 op_sel_hi:[1,0,1]
	v_pk_fma_f16 v12, v63, v3, v13 op_sel_hi:[1,0,1]
	;; [unrolled: 1-line block ×4, first 2 shown]
	v_pk_fma_f16 v2, v77, v3, v2 op_sel:[0,1,0]
	v_pk_fma_f16 v1, v100, v4, v1 op_sel_hi:[1,0,1]
	v_pk_fma_f16 v8, v112, v4, v8 op_sel:[0,1,0]
	v_pk_fma_f16 v9, v113, v4, v9 op_sel:[0,1,0]
	v_mov_b32_e32 v112, s9
	v_add_co_u32_e32 v113, vcc, s8, v148
	v_pk_fma_f16 v11, v78, v3, v11 op_sel:[0,1,0]
	v_pk_fma_f16 v12, v79, v3, v12 op_sel:[0,1,0]
	;; [unrolled: 1-line block ×4, first 2 shown]
	v_pk_fma_f16 v2, v101, v4, v2 op_sel_hi:[1,0,1]
	v_pk_fma_f16 v1, v108, v4, v1 op_sel:[0,1,0]
	v_addc_co_u32_e32 v112, vcc, v112, v149, vcc
	v_pk_fma_f16 v3, v102, v4, v11 op_sel_hi:[1,0,1]
	v_pk_fma_f16 v11, v103, v4, v12 op_sel_hi:[1,0,1]
	;; [unrolled: 1-line block ×4, first 2 shown]
	v_pk_fma_f16 v2, v109, v4, v2 op_sel:[0,1,0]
	v_pk_fma_f16 v1, v116, v5, v1 op_sel_hi:[1,0,1]
	v_add_co_u32_e32 v116, vcc, v113, v191
	v_pk_fma_f16 v3, v110, v4, v3 op_sel:[0,1,0]
	v_pk_fma_f16 v11, v111, v4, v11 op_sel:[0,1,0]
	;; [unrolled: 1-line block ×4, first 2 shown]
	v_pk_fma_f16 v4, v117, v5, v2 op_sel_hi:[1,0,1]
	v_addc_co_u32_e32 v117, vcc, 0, v112, vcc
	v_pk_fma_f16 v179, v120, v5, v8 op_sel_hi:[1,0,1]
	v_pk_fma_f16 v180, v121, v5, v9 op_sel_hi:[1,0,1]
	v_mov_b32_e32 v120, s9
	v_add_co_u32_e32 v121, vcc, s8, v150
	v_addc_co_u32_e32 v120, vcc, v120, v151, vcc
	s_waitcnt vmcnt(3)
	ds_write_b128 v163, v[124:127]
	s_waitcnt vmcnt(2)
	ds_write_b128 v164, v[128:131]
	;; [unrolled: 2-line block ×4, first 2 shown]
	v_add_co_u32_e32 v124, vcc, v121, v191
	v_addc_co_u32_e32 v125, vcc, 0, v120, vcc
	v_pk_fma_f16 v173, v118, v5, v3 op_sel_hi:[1,0,1]
	v_pk_fma_f16 v178, v119, v5, v11 op_sel_hi:[1,0,1]
	;; [unrolled: 1-line block ×4, first 2 shown]
	v_pk_fma_f16 v48, v48, v5, v1 op_sel:[0,1,0]
	s_waitcnt lgkmcnt(0)
	s_barrier
	ds_read2_b64 v[36:39], v167 offset1:32
	ds_read2_b64 v[44:47], v167 offset0:64 offset1:96
	ds_read_b128 v[0:3], v161 offset:64
	ds_read2_b64 v[52:55], v167 offset0:128 offset1:160
	ds_read2_b64 v[60:63], v167 offset0:192 offset1:224
	ds_read2_b64 v[68:71], v188 offset1:32
	ds_read2_b64 v[76:79], v188 offset0:64 offset1:96
	ds_read2_b64 v[100:103], v188 offset0:128 offset1:160
	ds_read2_b64 v[104:107], v188 offset0:192 offset1:224
	ds_read2_b64 v[108:111], v190 offset1:32
	ds_read2_b64 v[8:11], v190 offset0:64 offset1:96
	;; [unrolled: 4-line block ×3, first 2 shown]
	ds_read2_b64 v[32:35], v189 offset0:128 offset1:160
	ds_read2_b64 v[28:31], v189 offset0:192 offset1:224
	s_waitcnt lgkmcnt(0)
	s_barrier
	global_load_dwordx4 v[112:115], v[116:117], off
	s_nop 0
	global_load_dwordx4 v[116:119], v[116:117], off offset:512
	s_nop 0
	global_load_dwordx4 v[120:123], v[124:125], off
	s_nop 0
	global_load_dwordx4 v[124:127], v[124:125], off offset:512
	v_pk_fma_f16 v4, v49, v5, v4 op_sel:[0,1,0]
	v_pk_fma_f16 v49, v50, v5, v173 op_sel:[0,1,0]
	;; [unrolled: 1-line block ×7, first 2 shown]
	v_pk_fma_f16 v43, v64, v6, v48 op_sel_hi:[1,0,1]
	v_pk_fma_f16 v4, v65, v6, v4 op_sel_hi:[1,0,1]
	;; [unrolled: 1-line block ×8, first 2 shown]
	v_pk_fma_f16 v43, v80, v6, v43 op_sel:[0,1,0]
	v_pk_fma_f16 v4, v81, v6, v4 op_sel:[0,1,0]
	;; [unrolled: 1-line block ×8, first 2 shown]
	v_pk_fma_f16 v6, v88, v7, v43 op_sel_hi:[1,0,1]
	v_pk_fma_f16 v4, v89, v7, v4 op_sel_hi:[1,0,1]
	;; [unrolled: 1-line block ×8, first 2 shown]
	s_or_b32 s8, s6, 48
	v_pk_fma_f16 v6, v96, v7, v6 op_sel:[0,1,0]
	v_pk_fma_f16 v4, v97, v7, v4 op_sel:[0,1,0]
	;; [unrolled: 1-line block ×8, first 2 shown]
	s_mul_hi_i32 s9, s8, s15
	s_mul_i32 s8, s8, s15
	v_pk_fma_f16 v6, v36, v0, v6 op_sel_hi:[1,0,1]
	v_pk_fma_f16 v4, v37, v0, v4 op_sel_hi:[1,0,1]
	;; [unrolled: 1-line block ×8, first 2 shown]
	s_lshl_b64 s[8:9], s[8:9], 2
	v_pk_fma_f16 v6, v52, v0, v6 op_sel:[0,1,0]
	v_pk_fma_f16 v4, v53, v0, v4 op_sel:[0,1,0]
	;; [unrolled: 1-line block ×8, first 2 shown]
	s_add_u32 s8, s12, s8
	v_pk_fma_f16 v5, v68, v1, v6 op_sel_hi:[1,0,1]
	v_pk_fma_f16 v4, v69, v1, v4 op_sel_hi:[1,0,1]
	;; [unrolled: 1-line block ×8, first 2 shown]
	s_addc_u32 s9, s13, s9
	v_pk_fma_f16 v5, v100, v1, v5 op_sel:[0,1,0]
	v_pk_fma_f16 v4, v101, v1, v4 op_sel:[0,1,0]
	;; [unrolled: 1-line block ×8, first 2 shown]
	v_mov_b32_e32 v0, s9
	v_add_co_u32_e32 v1, vcc, s8, v148
	v_addc_co_u32_e32 v100, vcc, v0, v149, vcc
	v_add_co_u32_e32 v0, vcc, v1, v191
	v_addc_co_u32_e32 v1, vcc, 0, v100, vcc
	v_pk_fma_f16 v131, v108, v2, v5 op_sel_hi:[1,0,1]
	v_pk_fma_f16 v132, v109, v2, v4 op_sel_hi:[1,0,1]
	;; [unrolled: 1-line block ×5, first 2 shown]
	s_waitcnt vmcnt(3)
	ds_write_b128 v163, v[112:115]
	s_waitcnt vmcnt(2)
	ds_write_b128 v164, v[116:119]
	;; [unrolled: 2-line block ×4, first 2 shown]
	s_waitcnt lgkmcnt(0)
	s_barrier
	ds_read2_b64 v[52:55], v167 offset1:32
	ds_read2_b64 v[56:59], v167 offset0:64 offset1:96
	ds_read_b128 v[4:7], v161 offset:80
	ds_read2_b64 v[60:63], v167 offset0:128 offset1:160
	ds_read2_b64 v[64:67], v167 offset0:192 offset1:224
	ds_read2_b64 v[68:71], v188 offset1:32
	ds_read2_b64 v[72:75], v188 offset0:64 offset1:96
	ds_read2_b64 v[76:79], v188 offset0:128 offset1:160
	ds_read2_b64 v[80:83], v188 offset0:192 offset1:224
	ds_read2_b64 v[84:87], v190 offset1:32
	ds_read2_b64 v[88:91], v190 offset0:64 offset1:96
	;; [unrolled: 4-line block ×3, first 2 shown]
	ds_read2_b64 v[48:51], v189 offset0:128 offset1:160
	ds_read2_b64 v[44:47], v189 offset0:192 offset1:224
	s_waitcnt lgkmcnt(0)
	s_barrier
	global_load_dwordx4 v[100:103], v[0:1], off
	global_load_dwordx4 v[104:107], v[0:1], off offset:512
	v_mov_b32_e32 v0, s9
	v_add_co_u32_e32 v1, vcc, s8, v150
	v_addc_co_u32_e32 v108, vcc, v0, v151, vcc
	v_add_co_u32_e32 v0, vcc, v1, v191
	v_addc_co_u32_e32 v1, vcc, 0, v108, vcc
	global_load_dwordx4 v[108:111], v[0:1], off
	global_load_dwordx4 v[112:115], v[0:1], off offset:512
	v_pk_fma_f16 v0, v9, v2, v128 op_sel_hi:[1,0,1]
	v_pk_fma_f16 v1, v10, v2, v129 op_sel_hi:[1,0,1]
	;; [unrolled: 1-line block ×3, first 2 shown]
	v_pk_fma_f16 v10, v16, v2, v131 op_sel:[0,1,0]
	v_pk_fma_f16 v11, v17, v2, v132 op_sel:[0,1,0]
	v_pk_fma_f16 v16, v18, v2, v133 op_sel:[0,1,0]
	v_pk_fma_f16 v17, v19, v2, v134 op_sel:[0,1,0]
	v_pk_fma_f16 v8, v12, v2, v8 op_sel:[0,1,0]
	v_pk_fma_f16 v0, v13, v2, v0 op_sel:[0,1,0]
	v_pk_fma_f16 v1, v14, v2, v1 op_sel:[0,1,0]
	v_pk_fma_f16 v2, v15, v2, v9 op_sel:[0,1,0]
	v_pk_fma_f16 v9, v24, v3, v10 op_sel_hi:[1,0,1]
	v_pk_fma_f16 v10, v25, v3, v11 op_sel_hi:[1,0,1]
	;; [unrolled: 1-line block ×8, first 2 shown]
	v_pk_fma_f16 v9, v32, v3, v9 op_sel:[0,1,0]
	v_pk_fma_f16 v10, v33, v3, v10 op_sel:[0,1,0]
	;; [unrolled: 1-line block ×8, first 2 shown]
	v_pk_fma_f16 v3, v52, v4, v9 op_sel_hi:[1,0,1]
	v_pk_fma_f16 v9, v53, v4, v10 op_sel_hi:[1,0,1]
	;; [unrolled: 1-line block ×3, first 2 shown]
	s_or_b32 s8, s6, 56
	v_pk_fma_f16 v11, v55, v4, v12 op_sel_hi:[1,0,1]
	v_pk_fma_f16 v8, v56, v4, v8 op_sel_hi:[1,0,1]
	v_pk_fma_f16 v0, v57, v4, v0 op_sel_hi:[1,0,1]
	v_pk_fma_f16 v1, v58, v4, v1 op_sel_hi:[1,0,1]
	v_pk_fma_f16 v2, v59, v4, v2 op_sel_hi:[1,0,1]
	v_pk_fma_f16 v9, v61, v4, v9 op_sel:[0,1,0]
	v_pk_fma_f16 v10, v62, v4, v10 op_sel:[0,1,0]
	s_mul_hi_i32 s9, s8, s15
	s_mul_i32 s8, s8, s15
	v_pk_fma_f16 v3, v60, v4, v3 op_sel:[0,1,0]
	v_pk_fma_f16 v11, v63, v4, v11 op_sel:[0,1,0]
	;; [unrolled: 1-line block ×6, first 2 shown]
	v_pk_fma_f16 v4, v69, v5, v9 op_sel_hi:[1,0,1]
	v_pk_fma_f16 v9, v70, v5, v10 op_sel_hi:[1,0,1]
	s_lshl_b64 s[8:9], s[8:9], 2
	v_pk_fma_f16 v3, v68, v5, v3 op_sel_hi:[1,0,1]
	v_pk_fma_f16 v10, v71, v5, v11 op_sel_hi:[1,0,1]
	;; [unrolled: 1-line block ×6, first 2 shown]
	v_pk_fma_f16 v4, v77, v5, v4 op_sel:[0,1,0]
	v_pk_fma_f16 v9, v78, v5, v9 op_sel:[0,1,0]
	s_add_u32 s8, s12, s8
	v_pk_fma_f16 v3, v76, v5, v3 op_sel:[0,1,0]
	v_pk_fma_f16 v10, v79, v5, v10 op_sel:[0,1,0]
	;; [unrolled: 1-line block ×6, first 2 shown]
	v_pk_fma_f16 v4, v85, v6, v4 op_sel_hi:[1,0,1]
	v_pk_fma_f16 v5, v86, v6, v9 op_sel_hi:[1,0,1]
	s_addc_u32 s9, s13, s9
	v_pk_fma_f16 v116, v93, v6, v4 op_sel:[0,1,0]
	v_pk_fma_f16 v117, v94, v6, v5 op_sel:[0,1,0]
	v_mov_b32_e32 v4, s9
	v_add_co_u32_e32 v5, vcc, s8, v148
	v_pk_fma_f16 v8, v88, v6, v8 op_sel_hi:[1,0,1]
	v_addc_co_u32_e32 v88, vcc, v4, v149, vcc
	v_pk_fma_f16 v3, v84, v6, v3 op_sel_hi:[1,0,1]
	v_add_co_u32_e32 v4, vcc, v5, v191
	v_pk_fma_f16 v9, v87, v6, v10 op_sel_hi:[1,0,1]
	v_pk_fma_f16 v0, v89, v6, v0 op_sel_hi:[1,0,1]
	;; [unrolled: 1-line block ×4, first 2 shown]
	v_pk_fma_f16 v3, v92, v6, v3 op_sel:[0,1,0]
	v_addc_co_u32_e32 v5, vcc, 0, v88, vcc
	v_pk_fma_f16 v118, v95, v6, v9 op_sel:[0,1,0]
	v_pk_fma_f16 v119, v96, v6, v8 op_sel:[0,1,0]
	;; [unrolled: 1-line block ×5, first 2 shown]
	v_pk_fma_f16 v40, v40, v7, v3 op_sel_hi:[1,0,1]
	s_waitcnt vmcnt(3)
	ds_write_b128 v163, v[100:103]
	s_waitcnt vmcnt(2)
	ds_write_b128 v164, v[104:107]
	;; [unrolled: 2-line block ×4, first 2 shown]
	s_waitcnt lgkmcnt(0)
	s_barrier
	ds_read2_b64 v[0:3], v167 offset1:32
	ds_read2_b64 v[8:11], v167 offset0:64 offset1:96
	ds_read_b128 v[12:15], v161 offset:96
	ds_read2_b64 v[16:19], v167 offset0:128 offset1:160
	ds_read2_b64 v[20:23], v167 offset0:192 offset1:224
	ds_read2_b64 v[24:27], v188 offset1:32
	ds_read2_b64 v[28:31], v188 offset0:64 offset1:96
	ds_read2_b64 v[32:35], v188 offset0:128 offset1:160
	ds_read2_b64 v[52:55], v188 offset0:192 offset1:224
	ds_read2_b64 v[56:59], v190 offset1:32
	ds_read2_b64 v[60:63], v190 offset0:64 offset1:96
	;; [unrolled: 4-line block ×3, first 2 shown]
	ds_read2_b64 v[80:83], v189 offset0:128 offset1:160
	ds_read2_b64 v[84:87], v189 offset0:192 offset1:224
	s_waitcnt lgkmcnt(0)
	s_barrier
	global_load_dwordx4 v[88:91], v[4:5], off
	global_load_dwordx4 v[92:95], v[4:5], off offset:512
	v_mov_b32_e32 v4, s9
	v_add_co_u32_e32 v5, vcc, s8, v150
	v_addc_co_u32_e32 v96, vcc, v4, v151, vcc
	v_add_co_u32_e32 v4, vcc, v5, v191
	v_addc_co_u32_e32 v5, vcc, 0, v96, vcc
	global_load_dwordx4 v[96:99], v[4:5], off
	global_load_dwordx4 v[100:103], v[4:5], off offset:512
	v_pk_fma_f16 v4, v41, v7, v116 op_sel_hi:[1,0,1]
	v_pk_fma_f16 v5, v42, v7, v117 op_sel_hi:[1,0,1]
	v_pk_fma_f16 v41, v43, v7, v118 op_sel_hi:[1,0,1]
	v_pk_fma_f16 v36, v36, v7, v119 op_sel_hi:[1,0,1]
	v_pk_fma_f16 v37, v37, v7, v120 op_sel_hi:[1,0,1]
	v_pk_fma_f16 v38, v38, v7, v121 op_sel_hi:[1,0,1]
	v_pk_fma_f16 v6, v39, v7, v6 op_sel_hi:[1,0,1]
	v_pk_fma_f16 v39, v48, v7, v40 op_sel:[0,1,0]
	v_pk_fma_f16 v4, v49, v7, v4 op_sel:[0,1,0]
	v_pk_fma_f16 v5, v50, v7, v5 op_sel:[0,1,0]
	v_pk_fma_f16 v40, v51, v7, v41 op_sel:[0,1,0]
	v_pk_fma_f16 v36, v44, v7, v36 op_sel:[0,1,0]
	v_pk_fma_f16 v37, v45, v7, v37 op_sel:[0,1,0]
	v_pk_fma_f16 v38, v46, v7, v38 op_sel:[0,1,0]
	v_pk_fma_f16 v6, v47, v7, v6 op_sel:[0,1,0]
	v_pk_fma_f16 v0, v0, v12, v39 op_sel_hi:[1,0,1]
	v_pk_fma_f16 v1, v1, v12, v4 op_sel_hi:[1,0,1]
	v_pk_fma_f16 v2, v2, v12, v5 op_sel_hi:[1,0,1]
	v_pk_fma_f16 v3, v3, v12, v40 op_sel_hi:[1,0,1]
	v_pk_fma_f16 v4, v8, v12, v36 op_sel_hi:[1,0,1]
	v_pk_fma_f16 v5, v9, v12, v37 op_sel_hi:[1,0,1]
	v_pk_fma_f16 v7, v10, v12, v38 op_sel_hi:[1,0,1]
	v_pk_fma_f16 v6, v11, v12, v6 op_sel_hi:[1,0,1]
	v_pk_fma_f16 v0, v16, v12, v0 op_sel:[0,1,0]
	v_pk_fma_f16 v1, v17, v12, v1 op_sel:[0,1,0]
	v_pk_fma_f16 v2, v18, v12, v2 op_sel:[0,1,0]
	v_pk_fma_f16 v3, v19, v12, v3 op_sel:[0,1,0]
	v_pk_fma_f16 v4, v20, v12, v4 op_sel:[0,1,0]
	v_pk_fma_f16 v5, v21, v12, v5 op_sel:[0,1,0]
	v_pk_fma_f16 v7, v22, v12, v7 op_sel:[0,1,0]
	v_pk_fma_f16 v6, v23, v12, v6 op_sel:[0,1,0]
	v_pk_fma_f16 v0, v24, v13, v0 op_sel_hi:[1,0,1]
	v_pk_fma_f16 v1, v25, v13, v1 op_sel_hi:[1,0,1]
	v_pk_fma_f16 v2, v26, v13, v2 op_sel_hi:[1,0,1]
	v_pk_fma_f16 v3, v27, v13, v3 op_sel_hi:[1,0,1]
	v_pk_fma_f16 v4, v28, v13, v4 op_sel_hi:[1,0,1]
	v_pk_fma_f16 v5, v29, v13, v5 op_sel_hi:[1,0,1]
	v_pk_fma_f16 v7, v30, v13, v7 op_sel_hi:[1,0,1]
	v_pk_fma_f16 v6, v31, v13, v6 op_sel_hi:[1,0,1]
	v_pk_fma_f16 v0, v32, v13, v0 op_sel:[0,1,0]
	v_pk_fma_f16 v1, v33, v13, v1 op_sel:[0,1,0]
	v_pk_fma_f16 v2, v34, v13, v2 op_sel:[0,1,0]
	v_pk_fma_f16 v3, v35, v13, v3 op_sel:[0,1,0]
	v_pk_fma_f16 v4, v52, v13, v4 op_sel:[0,1,0]
	v_pk_fma_f16 v5, v53, v13, v5 op_sel:[0,1,0]
	v_pk_fma_f16 v7, v54, v13, v7 op_sel:[0,1,0]
	v_pk_fma_f16 v6, v55, v13, v6 op_sel:[0,1,0]
	v_pk_fma_f16 v0, v56, v14, v0 op_sel_hi:[1,0,1]
	v_pk_fma_f16 v1, v57, v14, v1 op_sel_hi:[1,0,1]
	v_pk_fma_f16 v2, v58, v14, v2 op_sel_hi:[1,0,1]
	v_pk_fma_f16 v3, v59, v14, v3 op_sel_hi:[1,0,1]
	v_pk_fma_f16 v4, v60, v14, v4 op_sel_hi:[1,0,1]
	v_pk_fma_f16 v5, v61, v14, v5 op_sel_hi:[1,0,1]
	v_pk_fma_f16 v7, v62, v14, v7 op_sel_hi:[1,0,1]
	v_pk_fma_f16 v6, v63, v14, v6 op_sel_hi:[1,0,1]
	v_pk_fma_f16 v0, v64, v14, v0 op_sel:[0,1,0]
	v_pk_fma_f16 v1, v65, v14, v1 op_sel:[0,1,0]
	v_pk_fma_f16 v2, v66, v14, v2 op_sel:[0,1,0]
	v_pk_fma_f16 v3, v67, v14, v3 op_sel:[0,1,0]
	v_pk_fma_f16 v4, v68, v14, v4 op_sel:[0,1,0]
	v_pk_fma_f16 v5, v69, v14, v5 op_sel:[0,1,0]
	v_pk_fma_f16 v7, v70, v14, v7 op_sel:[0,1,0]
	v_pk_fma_f16 v6, v71, v14, v6 op_sel:[0,1,0]
	v_pk_fma_f16 v0, v72, v15, v0 op_sel_hi:[1,0,1]
	v_pk_fma_f16 v1, v73, v15, v1 op_sel_hi:[1,0,1]
	v_pk_fma_f16 v2, v74, v15, v2 op_sel_hi:[1,0,1]
	;; [unrolled: 1-line block ×7, first 2 shown]
	v_pk_fma_f16 v12, v80, v15, v0 op_sel:[0,1,0]
	v_pk_fma_f16 v13, v81, v15, v1 op_sel:[0,1,0]
	;; [unrolled: 1-line block ×5, first 2 shown]
	s_waitcnt vmcnt(3)
	ds_write_b128 v163, v[88:91]
	s_waitcnt vmcnt(2)
	ds_write_b128 v164, v[92:95]
	;; [unrolled: 2-line block ×4, first 2 shown]
	s_waitcnt lgkmcnt(0)
	s_barrier
	ds_read2_b64 v[0:3], v167 offset1:32
	ds_read_b128 v[4:7], v161 offset:112
	v_pk_fma_f16 v18, v85, v15, v8 op_sel:[0,1,0]
	v_pk_fma_f16 v19, v86, v15, v9 op_sel:[0,1,0]
	v_pk_fma_f16 v15, v87, v15, v10 op_sel:[0,1,0]
	ds_read2_b64 v[8:11], v167 offset0:64 offset1:96
	s_waitcnt lgkmcnt(1)
	v_pk_fma_f16 v12, v0, v4, v12 op_sel_hi:[1,0,1]
	v_pk_fma_f16 v13, v1, v4, v13 op_sel_hi:[1,0,1]
	v_pk_fma_f16 v14, v2, v4, v14 op_sel_hi:[1,0,1]
	v_pk_fma_f16 v16, v3, v4, v16 op_sel_hi:[1,0,1]
	s_waitcnt lgkmcnt(0)
	v_pk_fma_f16 v17, v8, v4, v17 op_sel_hi:[1,0,1]
	ds_read2_b64 v[0:3], v167 offset0:128 offset1:160
	v_pk_fma_f16 v18, v9, v4, v18 op_sel_hi:[1,0,1]
	v_pk_fma_f16 v19, v10, v4, v19 op_sel_hi:[1,0,1]
	v_pk_fma_f16 v15, v11, v4, v15 op_sel_hi:[1,0,1]
	ds_read2_b64 v[8:11], v167 offset0:192 offset1:224
	s_waitcnt lgkmcnt(1)
	v_pk_fma_f16 v12, v0, v4, v12 op_sel:[0,1,0]
	v_pk_fma_f16 v13, v1, v4, v13 op_sel:[0,1,0]
	v_pk_fma_f16 v14, v2, v4, v14 op_sel:[0,1,0]
	v_pk_fma_f16 v16, v3, v4, v16 op_sel:[0,1,0]
	s_waitcnt lgkmcnt(0)
	v_pk_fma_f16 v17, v8, v4, v17 op_sel:[0,1,0]
	ds_read2_b64 v[0:3], v188 offset1:32
	v_pk_fma_f16 v18, v9, v4, v18 op_sel:[0,1,0]
	v_pk_fma_f16 v19, v10, v4, v19 op_sel:[0,1,0]
	v_pk_fma_f16 v4, v11, v4, v15 op_sel:[0,1,0]
	ds_read2_b64 v[8:11], v188 offset0:64 offset1:96
	s_waitcnt lgkmcnt(1)
	v_pk_fma_f16 v12, v0, v5, v12 op_sel_hi:[1,0,1]
	v_pk_fma_f16 v13, v1, v5, v13 op_sel_hi:[1,0,1]
	v_pk_fma_f16 v14, v2, v5, v14 op_sel_hi:[1,0,1]
	v_pk_fma_f16 v15, v3, v5, v16 op_sel_hi:[1,0,1]
	s_waitcnt lgkmcnt(0)
	v_pk_fma_f16 v16, v8, v5, v17 op_sel_hi:[1,0,1]
	ds_read2_b64 v[0:3], v188 offset0:128 offset1:160
	v_pk_fma_f16 v17, v9, v5, v18 op_sel_hi:[1,0,1]
	v_pk_fma_f16 v18, v10, v5, v19 op_sel_hi:[1,0,1]
	v_pk_fma_f16 v4, v11, v5, v4 op_sel_hi:[1,0,1]
	ds_read2_b64 v[8:11], v188 offset0:192 offset1:224
	s_waitcnt lgkmcnt(1)
	v_pk_fma_f16 v12, v0, v5, v12 op_sel:[0,1,0]
	v_pk_fma_f16 v13, v1, v5, v13 op_sel:[0,1,0]
	v_pk_fma_f16 v14, v2, v5, v14 op_sel:[0,1,0]
	v_pk_fma_f16 v15, v3, v5, v15 op_sel:[0,1,0]
	s_waitcnt lgkmcnt(0)
	v_pk_fma_f16 v16, v8, v5, v16 op_sel:[0,1,0]
	ds_read2_b64 v[0:3], v190 offset1:32
	;; [unrolled: 24-line block ×3, first 2 shown]
	v_pk_fma_f16 v16, v9, v6, v16 op_sel:[0,1,0]
	v_pk_fma_f16 v17, v10, v6, v17 op_sel:[0,1,0]
	;; [unrolled: 1-line block ×3, first 2 shown]
	ds_read2_b64 v[8:11], v189 offset0:64 offset1:96
	s_waitcnt lgkmcnt(1)
	v_pk_fma_f16 v5, v0, v7, v5 op_sel_hi:[1,0,1]
	v_pk_fma_f16 v6, v1, v7, v12 op_sel_hi:[1,0,1]
	v_pk_fma_f16 v12, v2, v7, v13 op_sel_hi:[1,0,1]
	v_pk_fma_f16 v13, v3, v7, v14 op_sel_hi:[1,0,1]
	s_waitcnt lgkmcnt(0)
	v_pk_fma_f16 v14, v8, v7, v15 op_sel_hi:[1,0,1]
	ds_read2_b64 v[0:3], v189 offset0:128 offset1:160
	v_pk_fma_f16 v15, v9, v7, v16 op_sel_hi:[1,0,1]
	v_pk_fma_f16 v16, v10, v7, v17 op_sel_hi:[1,0,1]
	;; [unrolled: 1-line block ×3, first 2 shown]
	ds_read2_b64 v[8:11], v189 offset0:192 offset1:224
	s_waitcnt lgkmcnt(0)
	s_barrier
	s_load_dword s8, s[0:1], 0x4
	v_pk_fma_f16 v180, v0, v7, v5 op_sel:[0,1,0]
	v_pk_fma_f16 v179, v1, v7, v6 op_sel:[0,1,0]
	;; [unrolled: 1-line block ×4, first 2 shown]
	s_waitcnt lgkmcnt(0)
	s_lshl_b32 s8, s8, 6
	s_add_i32 s6, s8, s6
	v_pk_fma_f16 v176, v8, v7, v14 op_sel:[0,1,0]
	v_pk_fma_f16 v175, v9, v7, v15 op_sel:[0,1,0]
	;; [unrolled: 1-line block ×3, first 2 shown]
	s_cmp_lt_i32 s6, s28
	v_pk_fma_f16 v173, v11, v7, v4 op_sel:[0,1,0]
	s_cbranch_scc0 .LBB32_19
; %bb.18:                               ;   in Loop: Header=BB32_9 Depth=1
	v_mov_b32_e32 v40, v152
	v_mov_b32_e32 v181, v192
	s_branch .LBB32_9
.LBB32_19:
	v_cmp_lt_i32_e32 vcc, v182, v183
	v_cndmask_b32_e32 v0, v139, v182, vcc
	v_lshlrev_b32_e32 v0, 2, v0
	ds_bpermute_b32 v0, v0, v192
	v_cmp_lt_i32_e32 vcc, v184, v183
	v_cndmask_b32_e32 v1, v139, v184, vcc
	v_lshlrev_b32_e32 v1, 2, v1
	v_cmp_lt_i32_e32 vcc, v185, v183
	s_waitcnt lgkmcnt(0)
	v_add_f32_e32 v0, v192, v0
	ds_bpermute_b32 v1, v1, v0
	v_cndmask_b32_e32 v2, v139, v185, vcc
	v_lshlrev_b32_e32 v2, 2, v2
	v_cmp_lt_i32_e32 vcc, v186, v183
	s_cmp_eq_u64 s[16:17], 0
	s_waitcnt lgkmcnt(0)
	v_add_f32_e32 v0, v0, v1
	ds_bpermute_b32 v1, v2, v0
	v_cndmask_b32_e32 v2, v139, v186, vcc
	v_lshlrev_b32_e32 v2, 2, v2
	v_cmp_lt_i32_e32 vcc, v187, v183
	v_cndmask_b32_e32 v3, v139, v187, vcc
	s_waitcnt lgkmcnt(0)
	v_add_f32_e32 v1, v0, v1
	ds_bpermute_b32 v2, v2, v1
	v_lshlrev_b32_e32 v3, 2, v3
	s_cselect_b64 s[0:1], -1, 0
	s_cmp_lg_u32 s7, 0
	s_cselect_b64 s[8:9], -1, 0
	s_waitcnt lgkmcnt(0)
	v_add_f32_e32 v1, v1, v2
	ds_bpermute_b32 v2, v3, v1
	s_or_b64 s[0:1], s[8:9], s[0:1]
	v_add_u32_e32 v0, s29, v153
	s_and_b64 vcc, exec, s[0:1]
	s_waitcnt lgkmcnt(0)
	v_add_f32_e32 v153, v1, v2
	s_cbranch_vccnz .LBB32_21
; %bb.20:
	v_ashrrev_i32_e32 v1, 31, v0
	v_lshlrev_b64 v[2:3], 2, v[0:1]
	v_mov_b32_e32 v1, s17
	v_add_co_u32_e32 v2, vcc, s16, v2
	v_addc_co_u32_e32 v3, vcc, v1, v3, vcc
	global_load_dword v1, v[2:3], off
	v_max_f32_e32 v2, v152, v152
	s_mov_b32 s0, 0x3fb8aa3b
	s_mov_b32 s1, 0xc2ce8ed0
	s_waitcnt vmcnt(0)
	v_max_f32_e32 v3, v1, v1
	v_max_f32_e32 v2, v2, v3
	v_sub_f32_e32 v3, v152, v2
	v_sub_f32_e32 v1, v1, v2
	v_mul_f32_e32 v4, 0x3fb8aa3b, v3
	v_mul_f32_e32 v5, 0x3fb8aa3b, v1
	v_fma_f32 v6, v3, s0, -v4
	v_rndne_f32_e32 v7, v4
	v_fma_f32 v8, v1, s0, -v5
	v_rndne_f32_e32 v9, v5
	v_fmac_f32_e32 v6, 0x32a5705f, v3
	v_sub_f32_e32 v4, v4, v7
	v_fmac_f32_e32 v8, 0x32a5705f, v1
	v_sub_f32_e32 v5, v5, v9
	v_add_f32_e32 v4, v4, v6
	v_cvt_i32_f32_e32 v7, v7
	v_add_f32_e32 v5, v5, v8
	v_exp_f32_e32 v4, v4
	v_cvt_i32_f32_e32 v9, v9
	v_exp_f32_e32 v5, v5
	v_cmp_ngt_f32_e32 vcc, s1, v3
	v_ldexp_f32 v4, v4, v7
	s_mov_b32 s0, 0x42b17218
	v_ldexp_f32 v5, v5, v9
	v_cndmask_b32_e32 v4, 0, v4, vcc
	v_cmp_ngt_f32_e32 vcc, s1, v1
	v_mov_b32_e32 v6, 0x7f800000
	v_cndmask_b32_e32 v5, 0, v5, vcc
	v_cmp_nlt_f32_e32 vcc, s0, v3
	v_cndmask_b32_e32 v4, v6, v4, vcc
	v_cvt_f16_f32_e32 v7, v4
	v_cmp_nlt_f32_e32 vcc, s0, v1
	v_cndmask_b32_e32 v3, v6, v5, vcc
	v_fmac_f32_e32 v3, v153, v4
	v_pk_mul_f16 v180, v7, v180 op_sel_hi:[0,1]
	v_pk_mul_f16 v179, v7, v179 op_sel_hi:[0,1]
	;; [unrolled: 1-line block ×8, first 2 shown]
	v_pk_mov_b32 v[152:153], v[2:3], v[2:3] op_sel:[0,1]
	s_branch .LBB32_22
.LBB32_21:
	v_mov_b32_e32 v3, v153
.LBB32_22:
	v_div_scale_f32 v1, s[0:1], v3, v3, 1.0
	v_rcp_f32_e32 v2, v1
	s_load_dword s4, s[4:5], 0xd4
	s_mul_i32 s33, s33, s2
	v_cvt_f32_f16_sdwa v11, v179 dst_sel:DWORD dst_unused:UNUSED_PAD src0_sel:WORD_1
	v_fma_f32 v4, -v1, v2, 1.0
	v_fmac_f32_e32 v2, v4, v2
	v_div_scale_f32 v4, vcc, 1.0, v3, 1.0
	v_mul_f32_e32 v5, v4, v2
	v_fma_f32 v6, -v1, v5, v4
	v_fmac_f32_e32 v5, v6, v2
	v_fma_f32 v1, -v1, v5, v4
	s_waitcnt lgkmcnt(0)
	s_cmp_lg_u32 s4, 1
	v_div_fmas_f32 v1, v1, v2, v5
	v_div_fixup_f32 v1, v1, v3, 1.0
	s_cselect_b64 s[0:1], -1, 0
	v_cndmask_b32_e64 v6, v1, 1.0, s[0:1]
	v_add_u32_e32 v1, s33, v137
	v_mad_u64_u32 v[0:1], s[2:3], v1, s3, v[0:1]
	v_mul_lo_u32 v0, s4, v0
	v_add_u32_e32 v0, s7, v0
	v_cvt_f32_f16_sdwa v5, v180 dst_sel:DWORD dst_unused:UNUSED_PAD src0_sel:WORD_1
	v_cvt_f32_f16_e32 v4, v180
	v_cvt_f32_f16_e32 v10, v179
	v_lshl_add_u32 v8, v0, 9, v154
	v_mov_b32_e32 v9, 0
	v_lshlrev_b64 v[2:3], 2, v[8:9]
	v_mov_b32_e32 v1, s21
	v_add_co_u32_e32 v12, vcc, s20, v2
	v_addc_co_u32_e32 v13, vcc, v1, v3, vcc
	v_pk_mul_f32 v[2:3], v[6:7], v[4:5] op_sel_hi:[0,1]
	v_pk_mul_f32 v[4:5], v[6:7], v[10:11] op_sel_hi:[0,1]
	global_store_dwordx4 v[12:13], v[2:5], off
	v_cvt_f32_f16_sdwa v11, v178 dst_sel:DWORD dst_unused:UNUSED_PAD src0_sel:WORD_1
	v_cvt_f32_f16_sdwa v5, v177 dst_sel:DWORD dst_unused:UNUSED_PAD src0_sel:WORD_1
	v_cvt_f32_f16_e32 v4, v177
	v_cvt_f32_f16_e32 v10, v178
	v_add_u32_e32 v2, 0x80, v8
	v_mov_b32_e32 v3, v9
	v_lshlrev_b64 v[2:3], 2, v[2:3]
	v_add_co_u32_e32 v12, vcc, s20, v2
	v_addc_co_u32_e32 v13, vcc, v1, v3, vcc
	v_pk_mul_f32 v[2:3], v[6:7], v[4:5] op_sel_hi:[0,1]
	v_pk_mul_f32 v[4:5], v[6:7], v[10:11] op_sel_hi:[0,1]
	global_store_dwordx4 v[12:13], v[2:5], off
	v_cvt_f32_f16_sdwa v11, v175 dst_sel:DWORD dst_unused:UNUSED_PAD src0_sel:WORD_1
	v_cvt_f32_f16_sdwa v5, v176 dst_sel:DWORD dst_unused:UNUSED_PAD src0_sel:WORD_1
	v_cvt_f32_f16_e32 v4, v176
	v_cvt_f32_f16_e32 v10, v175
	v_add_u32_e32 v2, 0x100, v8
	v_mov_b32_e32 v3, v9
	v_lshlrev_b64 v[2:3], 2, v[2:3]
	v_add_co_u32_e32 v12, vcc, s20, v2
	v_addc_co_u32_e32 v13, vcc, v1, v3, vcc
	v_pk_mul_f32 v[2:3], v[6:7], v[4:5] op_sel_hi:[0,1]
	v_pk_mul_f32 v[4:5], v[6:7], v[10:11] op_sel_hi:[0,1]
	v_add_u32_e32 v8, 0x180, v8
	global_store_dwordx4 v[12:13], v[2:5], off
	s_nop 0
	v_lshlrev_b64 v[2:3], 2, v[8:9]
	v_cvt_f32_f16_sdwa v5, v174 dst_sel:DWORD dst_unused:UNUSED_PAD src0_sel:WORD_1
	v_cvt_f32_f16_e32 v4, v174
	v_cvt_f32_f16_sdwa v9, v173 dst_sel:DWORD dst_unused:UNUSED_PAD src0_sel:WORD_1
	v_cvt_f32_f16_e32 v8, v173
	v_add_co_u32_e32 v10, vcc, s20, v2
	v_addc_co_u32_e32 v11, vcc, v1, v3, vcc
	v_cmp_eq_u32_e32 vcc, 0, v136
	v_pk_mul_f32 v[2:3], v[6:7], v[4:5] op_sel_hi:[0,1]
	v_pk_mul_f32 v[4:5], v[6:7], v[8:9] op_sel_hi:[0,1]
	s_and_b64 s[0:1], vcc, s[0:1]
	global_store_dwordx4 v[10:11], v[2:5], off
	s_and_saveexec_b64 s[2:3], s[0:1]
	s_cbranch_execz .LBB32_24
; %bb.23:
	v_ashrrev_i32_e32 v1, 31, v0
	v_lshlrev_b64 v[0:1], 3, v[0:1]
	v_mov_b32_e32 v2, s23
	v_add_co_u32_e32 v0, vcc, s22, v0
	v_addc_co_u32_e32 v1, vcc, v2, v1, vcc
	global_store_dwordx2 v[0:1], v[152:153], off
.LBB32_24:
	s_endpgm
	.section	.rodata,"a",@progbits
	.p2align	6, 0x0
	.amdhsa_kernel _ZL15flash_attn_tileILi512ELi512ELi1ELi4ELb1EEvPKcS1_S1_S1_S1_PKiPfP15HIP_vector_typeIfLj2EEffffjfiS5_IjLj3EEiiiiiiiiiiiliiliiiiil
		.amdhsa_group_segment_fixed_size 13824
		.amdhsa_private_segment_fixed_size 0
		.amdhsa_kernarg_size 464
		.amdhsa_user_sgpr_count 6
		.amdhsa_user_sgpr_private_segment_buffer 1
		.amdhsa_user_sgpr_dispatch_ptr 0
		.amdhsa_user_sgpr_queue_ptr 0
		.amdhsa_user_sgpr_kernarg_segment_ptr 1
		.amdhsa_user_sgpr_dispatch_id 0
		.amdhsa_user_sgpr_flat_scratch_init 0
		.amdhsa_user_sgpr_kernarg_preload_length 0
		.amdhsa_user_sgpr_kernarg_preload_offset 0
		.amdhsa_user_sgpr_private_segment_size 0
		.amdhsa_uses_dynamic_stack 0
		.amdhsa_system_sgpr_private_segment_wavefront_offset 0
		.amdhsa_system_sgpr_workgroup_id_x 1
		.amdhsa_system_sgpr_workgroup_id_y 1
		.amdhsa_system_sgpr_workgroup_id_z 1
		.amdhsa_system_sgpr_workgroup_info 0
		.amdhsa_system_vgpr_workitem_id 1
		.amdhsa_next_free_vgpr 215
		.amdhsa_next_free_sgpr 44
		.amdhsa_accum_offset 216
		.amdhsa_reserve_vcc 1
		.amdhsa_reserve_flat_scratch 0
		.amdhsa_float_round_mode_32 0
		.amdhsa_float_round_mode_16_64 0
		.amdhsa_float_denorm_mode_32 3
		.amdhsa_float_denorm_mode_16_64 3
		.amdhsa_dx10_clamp 1
		.amdhsa_ieee_mode 1
		.amdhsa_fp16_overflow 0
		.amdhsa_tg_split 0
		.amdhsa_exception_fp_ieee_invalid_op 0
		.amdhsa_exception_fp_denorm_src 0
		.amdhsa_exception_fp_ieee_div_zero 0
		.amdhsa_exception_fp_ieee_overflow 0
		.amdhsa_exception_fp_ieee_underflow 0
		.amdhsa_exception_fp_ieee_inexact 0
		.amdhsa_exception_int_div_zero 0
	.end_amdhsa_kernel
	.section	.text._ZL15flash_attn_tileILi512ELi512ELi1ELi4ELb1EEvPKcS1_S1_S1_S1_PKiPfP15HIP_vector_typeIfLj2EEffffjfiS5_IjLj3EEiiiiiiiiiiiliiliiiiil,"axG",@progbits,_ZL15flash_attn_tileILi512ELi512ELi1ELi4ELb1EEvPKcS1_S1_S1_S1_PKiPfP15HIP_vector_typeIfLj2EEffffjfiS5_IjLj3EEiiiiiiiiiiiliiliiiiil,comdat
.Lfunc_end32:
	.size	_ZL15flash_attn_tileILi512ELi512ELi1ELi4ELb1EEvPKcS1_S1_S1_S1_PKiPfP15HIP_vector_typeIfLj2EEffffjfiS5_IjLj3EEiiiiiiiiiiiliiliiiiil, .Lfunc_end32-_ZL15flash_attn_tileILi512ELi512ELi1ELi4ELb1EEvPKcS1_S1_S1_S1_PKiPfP15HIP_vector_typeIfLj2EEffffjfiS5_IjLj3EEiiiiiiiiiiiliiliiiiil
                                        ; -- End function
	.section	.AMDGPU.csdata,"",@progbits
; Kernel info:
; codeLenInByte = 17340
; NumSgprs: 48
; NumVgprs: 215
; NumAgprs: 0
; TotalNumVgprs: 215
; ScratchSize: 0
; MemoryBound: 0
; FloatMode: 240
; IeeeMode: 1
; LDSByteSize: 13824 bytes/workgroup (compile time only)
; SGPRBlocks: 5
; VGPRBlocks: 26
; NumSGPRsForWavesPerEU: 48
; NumVGPRsForWavesPerEU: 215
; AccumOffset: 216
; Occupancy: 2
; WaveLimiterHint : 1
; COMPUTE_PGM_RSRC2:SCRATCH_EN: 0
; COMPUTE_PGM_RSRC2:USER_SGPR: 6
; COMPUTE_PGM_RSRC2:TRAP_HANDLER: 0
; COMPUTE_PGM_RSRC2:TGID_X_EN: 1
; COMPUTE_PGM_RSRC2:TGID_Y_EN: 1
; COMPUTE_PGM_RSRC2:TGID_Z_EN: 1
; COMPUTE_PGM_RSRC2:TIDIG_COMP_CNT: 1
; COMPUTE_PGM_RSRC3_GFX90A:ACCUM_OFFSET: 53
; COMPUTE_PGM_RSRC3_GFX90A:TG_SPLIT: 0
	.text
	.p2alignl 6, 3212836864
	.fill 256, 4, 3212836864
	.type	__hip_cuid_846a5c9c9a08925,@object ; @__hip_cuid_846a5c9c9a08925
	.section	.bss,"aw",@nobits
	.globl	__hip_cuid_846a5c9c9a08925
__hip_cuid_846a5c9c9a08925:
	.byte	0                               ; 0x0
	.size	__hip_cuid_846a5c9c9a08925, 1

	.ident	"AMD clang version 19.0.0git (https://github.com/RadeonOpenCompute/llvm-project roc-6.4.0 25133 c7fe45cf4b819c5991fe208aaa96edf142730f1d)"
	.section	".note.GNU-stack","",@progbits
	.addrsig
	.addrsig_sym __hip_cuid_846a5c9c9a08925
	.amdgpu_metadata
---
amdhsa.kernels:
  - .agpr_count:     0
    .args:
      - .address_space:  global
        .offset:         0
        .size:           8
        .value_kind:     global_buffer
      - .address_space:  global
        .offset:         8
        .size:           8
        .value_kind:     global_buffer
      - .address_space:  global
        .offset:         16
        .size:           8
        .value_kind:     global_buffer
      - .address_space:  global
        .offset:         24
        .size:           8
        .value_kind:     global_buffer
      - .address_space:  global
        .offset:         32
        .size:           8
        .value_kind:     global_buffer
      - .address_space:  global
        .offset:         40
        .size:           8
        .value_kind:     global_buffer
      - .address_space:  global
        .offset:         48
        .size:           8
        .value_kind:     global_buffer
      - .address_space:  global
        .offset:         56
        .size:           8
        .value_kind:     global_buffer
      - .offset:         64
        .size:           4
        .value_kind:     by_value
      - .offset:         68
        .size:           4
        .value_kind:     by_value
      - .offset:         72
        .size:           4
        .value_kind:     by_value
      - .offset:         76
        .size:           4
        .value_kind:     by_value
      - .offset:         80
        .size:           4
        .value_kind:     by_value
      - .offset:         84
        .size:           4
        .value_kind:     by_value
      - .offset:         88
        .size:           4
        .value_kind:     by_value
      - .offset:         92
        .size:           12
        .value_kind:     by_value
      - .offset:         104
        .size:           4
        .value_kind:     by_value
      - .offset:         108
        .size:           4
        .value_kind:     by_value
      - .offset:         112
        .size:           4
        .value_kind:     by_value
      - .offset:         116
        .size:           4
        .value_kind:     by_value
      - .offset:         120
        .size:           4
        .value_kind:     by_value
      - .offset:         124
        .size:           4
        .value_kind:     by_value
      - .offset:         128
        .size:           4
        .value_kind:     by_value
      - .offset:         132
        .size:           4
        .value_kind:     by_value
      - .offset:         136
        .size:           4
        .value_kind:     by_value
      - .offset:         140
        .size:           4
        .value_kind:     by_value
      - .offset:         144
        .size:           4
        .value_kind:     by_value
      - .offset:         152
        .size:           8
        .value_kind:     by_value
      - .offset:         160
        .size:           4
        .value_kind:     by_value
      - .offset:         164
        .size:           4
        .value_kind:     by_value
      - .offset:         168
        .size:           8
        .value_kind:     by_value
      - .offset:         176
        .size:           4
        .value_kind:     by_value
      - .offset:         180
        .size:           4
        .value_kind:     by_value
      - .offset:         184
        .size:           4
        .value_kind:     by_value
      - .offset:         188
        .size:           4
        .value_kind:     by_value
      - .offset:         192
        .size:           4
        .value_kind:     by_value
      - .offset:         200
        .size:           8
        .value_kind:     by_value
      - .offset:         208
        .size:           4
        .value_kind:     hidden_block_count_x
      - .offset:         212
        .size:           4
        .value_kind:     hidden_block_count_y
      - .offset:         216
        .size:           4
        .value_kind:     hidden_block_count_z
      - .offset:         220
        .size:           2
        .value_kind:     hidden_group_size_x
      - .offset:         222
        .size:           2
        .value_kind:     hidden_group_size_y
      - .offset:         224
        .size:           2
        .value_kind:     hidden_group_size_z
      - .offset:         226
        .size:           2
        .value_kind:     hidden_remainder_x
      - .offset:         228
        .size:           2
        .value_kind:     hidden_remainder_y
      - .offset:         230
        .size:           2
        .value_kind:     hidden_remainder_z
      - .offset:         248
        .size:           8
        .value_kind:     hidden_global_offset_x
      - .offset:         256
        .size:           8
        .value_kind:     hidden_global_offset_y
      - .offset:         264
        .size:           8
        .value_kind:     hidden_global_offset_z
      - .offset:         272
        .size:           2
        .value_kind:     hidden_grid_dims
    .group_segment_fixed_size: 59392
    .kernarg_segment_align: 8
    .kernarg_segment_size: 464
    .language:       OpenCL C
    .language_version:
      - 2
      - 0
    .max_flat_workgroup_size: 512
    .name:           _ZL15flash_attn_tileILi512ELi512ELi4ELi8ELb0EEvPKcS1_S1_S1_S1_PKiPfP15HIP_vector_typeIfLj2EEffffjfiS5_IjLj3EEiiiiiiiiiiiliiliiiiil
    .private_segment_fixed_size: 0
    .sgpr_count:     50
    .sgpr_spill_count: 0
    .symbol:         _ZL15flash_attn_tileILi512ELi512ELi4ELi8ELb0EEvPKcS1_S1_S1_S1_PKiPfP15HIP_vector_typeIfLj2EEffffjfiS5_IjLj3EEiiiiiiiiiiiliiliiiiil.kd
    .uniform_work_group_size: 1
    .uses_dynamic_stack: false
    .vgpr_count:     234
    .vgpr_spill_count: 0
    .wavefront_size: 64
  - .agpr_count:     0
    .args:
      - .actual_access:  read_only
        .address_space:  global
        .offset:         0
        .size:           8
        .value_kind:     global_buffer
      - .actual_access:  write_only
        .address_space:  global
        .offset:         8
        .size:           8
        .value_kind:     global_buffer
      - .offset:         16
        .size:           4
        .value_kind:     by_value
      - .offset:         20
        .size:           4
        .value_kind:     by_value
      - .offset:         24
        .size:           4
        .value_kind:     by_value
      - .offset:         32
        .size:           4
        .value_kind:     hidden_block_count_x
      - .offset:         36
        .size:           4
        .value_kind:     hidden_block_count_y
      - .offset:         40
        .size:           4
        .value_kind:     hidden_block_count_z
      - .offset:         44
        .size:           2
        .value_kind:     hidden_group_size_x
      - .offset:         46
        .size:           2
        .value_kind:     hidden_group_size_y
      - .offset:         48
        .size:           2
        .value_kind:     hidden_group_size_z
      - .offset:         50
        .size:           2
        .value_kind:     hidden_remainder_x
      - .offset:         52
        .size:           2
        .value_kind:     hidden_remainder_y
      - .offset:         54
        .size:           2
        .value_kind:     hidden_remainder_z
      - .offset:         72
        .size:           8
        .value_kind:     hidden_global_offset_x
      - .offset:         80
        .size:           8
        .value_kind:     hidden_global_offset_y
      - .offset:         88
        .size:           8
        .value_kind:     hidden_global_offset_z
      - .offset:         96
        .size:           2
        .value_kind:     hidden_grid_dims
    .group_segment_fixed_size: 128
    .kernarg_segment_align: 8
    .kernarg_segment_size: 288
    .language:       OpenCL C
    .language_version:
      - 2
      - 0
    .max_flat_workgroup_size: 128
    .name:           _ZL25flash_attn_mask_to_KV_maxILi4EEvPK7__half2Piiii
    .private_segment_fixed_size: 0
    .sgpr_count:     40
    .sgpr_spill_count: 0
    .symbol:         _ZL25flash_attn_mask_to_KV_maxILi4EEvPK7__half2Piiii.kd
    .uniform_work_group_size: 1
    .uses_dynamic_stack: false
    .vgpr_count:     17
    .vgpr_spill_count: 0
    .wavefront_size: 64
  - .agpr_count:     0
    .args:
      - .address_space:  global
        .offset:         0
        .size:           8
        .value_kind:     global_buffer
      - .address_space:  global
        .offset:         8
        .size:           8
        .value_kind:     global_buffer
      - .offset:         16
        .size:           4
        .value_kind:     by_value
      - .offset:         20
        .size:           4
        .value_kind:     by_value
      - .offset:         24
        .size:           4
        .value_kind:     by_value
      - .offset:         28
        .size:           4
        .value_kind:     by_value
      - .offset:         32
        .size:           4
        .value_kind:     by_value
      - .offset:         36
        .size:           4
        .value_kind:     by_value
      - .offset:         40
        .size:           12
        .value_kind:     by_value
      - .offset:         52
        .size:           12
        .value_kind:     by_value
      - .offset:         64
        .size:           12
        .value_kind:     by_value
    .group_segment_fixed_size: 0
    .kernarg_segment_align: 8
    .kernarg_segment_size: 76
    .language:       OpenCL C
    .language_version:
      - 2
      - 0
    .max_flat_workgroup_size: 512
    .name:           _ZL33flash_attn_stream_k_fixup_uniformILi512ELi4ELi8EEvPfPK15HIP_vector_typeIfLj2EEiiiiiiS1_IjLj3EES5_S5_
    .private_segment_fixed_size: 0
    .sgpr_count:     24
    .sgpr_spill_count: 0
    .symbol:         _ZL33flash_attn_stream_k_fixup_uniformILi512ELi4ELi8EEvPfPK15HIP_vector_typeIfLj2EEiiiiiiS1_IjLj3EES5_S5_.kd
    .uniform_work_group_size: 1
    .uses_dynamic_stack: false
    .vgpr_count:     17
    .vgpr_spill_count: 0
    .wavefront_size: 64
  - .agpr_count:     0
    .args:
      - .address_space:  global
        .offset:         0
        .size:           8
        .value_kind:     global_buffer
      - .address_space:  global
        .offset:         8
        .size:           8
        .value_kind:     global_buffer
      - .offset:         16
        .size:           4
        .value_kind:     by_value
      - .offset:         20
        .size:           4
        .value_kind:     by_value
      - .offset:         24
        .size:           4
        .value_kind:     by_value
      - .offset:         28
        .size:           4
        .value_kind:     by_value
      - .offset:         32
        .size:           12
        .value_kind:     by_value
      - .offset:         44
        .size:           12
        .value_kind:     by_value
      - .offset:         56
        .size:           12
        .value_kind:     by_value
      - .offset:         68
        .size:           12
        .value_kind:     by_value
      - .offset:         80
        .size:           4
        .value_kind:     hidden_block_count_x
      - .offset:         84
        .size:           4
        .value_kind:     hidden_block_count_y
      - .offset:         88
        .size:           4
        .value_kind:     hidden_block_count_z
      - .offset:         92
        .size:           2
        .value_kind:     hidden_group_size_x
      - .offset:         94
        .size:           2
        .value_kind:     hidden_group_size_y
      - .offset:         96
        .size:           2
        .value_kind:     hidden_group_size_z
      - .offset:         98
        .size:           2
        .value_kind:     hidden_remainder_x
      - .offset:         100
        .size:           2
        .value_kind:     hidden_remainder_y
      - .offset:         102
        .size:           2
        .value_kind:     hidden_remainder_z
      - .offset:         120
        .size:           8
        .value_kind:     hidden_global_offset_x
      - .offset:         128
        .size:           8
        .value_kind:     hidden_global_offset_y
      - .offset:         136
        .size:           8
        .value_kind:     hidden_global_offset_z
      - .offset:         144
        .size:           2
        .value_kind:     hidden_grid_dims
    .group_segment_fixed_size: 0
    .kernarg_segment_align: 8
    .kernarg_segment_size: 336
    .language:       OpenCL C
    .language_version:
      - 2
      - 0
    .max_flat_workgroup_size: 512
    .name:           _ZL33flash_attn_stream_k_fixup_generalILi512ELi4ELi8EEvPfPK15HIP_vector_typeIfLj2EEiiiiS1_IjLj3EES5_S5_S5_
    .private_segment_fixed_size: 0
    .sgpr_count:     36
    .sgpr_spill_count: 0
    .symbol:         _ZL33flash_attn_stream_k_fixup_generalILi512ELi4ELi8EEvPfPK15HIP_vector_typeIfLj2EEiiiiS1_IjLj3EES5_S5_S5_.kd
    .uniform_work_group_size: 1
    .uses_dynamic_stack: false
    .vgpr_count:     22
    .vgpr_spill_count: 0
    .wavefront_size: 64
  - .agpr_count:     0
    .args:
      - .address_space:  global
        .offset:         0
        .size:           8
        .value_kind:     global_buffer
      - .address_space:  global
        .offset:         8
        .size:           8
        .value_kind:     global_buffer
      - .address_space:  global
        .offset:         16
        .size:           8
        .value_kind:     global_buffer
      - .offset:         24
        .size:           4
        .value_kind:     by_value
      - .offset:         32
        .size:           4
        .value_kind:     hidden_block_count_x
      - .offset:         36
        .size:           4
        .value_kind:     hidden_block_count_y
      - .offset:         40
        .size:           4
        .value_kind:     hidden_block_count_z
      - .offset:         44
        .size:           2
        .value_kind:     hidden_group_size_x
      - .offset:         46
        .size:           2
        .value_kind:     hidden_group_size_y
      - .offset:         48
        .size:           2
        .value_kind:     hidden_group_size_z
      - .offset:         50
        .size:           2
        .value_kind:     hidden_remainder_x
      - .offset:         52
        .size:           2
        .value_kind:     hidden_remainder_y
      - .offset:         54
        .size:           2
        .value_kind:     hidden_remainder_z
      - .offset:         72
        .size:           8
        .value_kind:     hidden_global_offset_x
      - .offset:         80
        .size:           8
        .value_kind:     hidden_global_offset_y
      - .offset:         88
        .size:           8
        .value_kind:     hidden_global_offset_z
      - .offset:         96
        .size:           2
        .value_kind:     hidden_grid_dims
      - .offset:         152
        .size:           4
        .value_kind:     hidden_dynamic_lds_size
    .group_segment_fixed_size: 0
    .kernarg_segment_align: 8
    .kernarg_segment_size: 288
    .language:       OpenCL C
    .language_version:
      - 2
      - 0
    .max_flat_workgroup_size: 512
    .name:           _ZL26flash_attn_combine_resultsILi512EEvPKfPK15HIP_vector_typeIfLj2EEPfi
    .private_segment_fixed_size: 0
    .sgpr_count:     30
    .sgpr_spill_count: 0
    .symbol:         _ZL26flash_attn_combine_resultsILi512EEvPKfPK15HIP_vector_typeIfLj2EEPfi.kd
    .uniform_work_group_size: 1
    .uses_dynamic_stack: false
    .vgpr_count:     51
    .vgpr_spill_count: 0
    .wavefront_size: 64
  - .agpr_count:     0
    .args:
      - .address_space:  global
        .offset:         0
        .size:           8
        .value_kind:     global_buffer
      - .address_space:  global
        .offset:         8
        .size:           8
        .value_kind:     global_buffer
      - .address_space:  global
        .offset:         16
        .size:           8
        .value_kind:     global_buffer
      - .address_space:  global
        .offset:         24
        .size:           8
        .value_kind:     global_buffer
      - .address_space:  global
        .offset:         32
        .size:           8
        .value_kind:     global_buffer
      - .address_space:  global
        .offset:         40
        .size:           8
        .value_kind:     global_buffer
      - .address_space:  global
        .offset:         48
        .size:           8
        .value_kind:     global_buffer
      - .address_space:  global
        .offset:         56
        .size:           8
        .value_kind:     global_buffer
      - .offset:         64
        .size:           4
        .value_kind:     by_value
      - .offset:         68
        .size:           4
        .value_kind:     by_value
      - .offset:         72
        .size:           4
        .value_kind:     by_value
      - .offset:         76
        .size:           4
        .value_kind:     by_value
      - .offset:         80
        .size:           4
        .value_kind:     by_value
      - .offset:         84
        .size:           4
        .value_kind:     by_value
      - .offset:         88
        .size:           4
        .value_kind:     by_value
      - .offset:         92
        .size:           12
        .value_kind:     by_value
      - .offset:         104
        .size:           4
        .value_kind:     by_value
      - .offset:         108
        .size:           4
        .value_kind:     by_value
      - .offset:         112
        .size:           4
        .value_kind:     by_value
      - .offset:         116
        .size:           4
        .value_kind:     by_value
      - .offset:         120
        .size:           4
        .value_kind:     by_value
      - .offset:         124
        .size:           4
        .value_kind:     by_value
      - .offset:         128
        .size:           4
        .value_kind:     by_value
      - .offset:         132
        .size:           4
        .value_kind:     by_value
      - .offset:         136
        .size:           4
        .value_kind:     by_value
      - .offset:         140
        .size:           4
        .value_kind:     by_value
      - .offset:         144
        .size:           4
        .value_kind:     by_value
      - .offset:         152
        .size:           8
        .value_kind:     by_value
      - .offset:         160
        .size:           4
        .value_kind:     by_value
      - .offset:         164
        .size:           4
        .value_kind:     by_value
      - .offset:         168
        .size:           8
        .value_kind:     by_value
      - .offset:         176
        .size:           4
        .value_kind:     by_value
      - .offset:         180
        .size:           4
        .value_kind:     by_value
      - .offset:         184
        .size:           4
        .value_kind:     by_value
      - .offset:         188
        .size:           4
        .value_kind:     by_value
      - .offset:         192
        .size:           4
        .value_kind:     by_value
      - .offset:         200
        .size:           8
        .value_kind:     by_value
      - .offset:         208
        .size:           4
        .value_kind:     hidden_block_count_x
      - .offset:         212
        .size:           4
        .value_kind:     hidden_block_count_y
      - .offset:         216
        .size:           4
        .value_kind:     hidden_block_count_z
      - .offset:         220
        .size:           2
        .value_kind:     hidden_group_size_x
      - .offset:         222
        .size:           2
        .value_kind:     hidden_group_size_y
      - .offset:         224
        .size:           2
        .value_kind:     hidden_group_size_z
      - .offset:         226
        .size:           2
        .value_kind:     hidden_remainder_x
      - .offset:         228
        .size:           2
        .value_kind:     hidden_remainder_y
      - .offset:         230
        .size:           2
        .value_kind:     hidden_remainder_z
      - .offset:         248
        .size:           8
        .value_kind:     hidden_global_offset_x
      - .offset:         256
        .size:           8
        .value_kind:     hidden_global_offset_y
      - .offset:         264
        .size:           8
        .value_kind:     hidden_global_offset_z
      - .offset:         272
        .size:           2
        .value_kind:     hidden_grid_dims
    .group_segment_fixed_size: 27648
    .kernarg_segment_align: 8
    .kernarg_segment_size: 464
    .language:       OpenCL C
    .language_version:
      - 2
      - 0
    .max_flat_workgroup_size: 256
    .name:           _ZL15flash_attn_tileILi512ELi512ELi2ELi8ELb0EEvPKcS1_S1_S1_S1_PKiPfP15HIP_vector_typeIfLj2EEffffjfiS5_IjLj3EEiiiiiiiiiiiliiliiiiil
    .private_segment_fixed_size: 0
    .sgpr_count:     50
    .sgpr_spill_count: 0
    .symbol:         _ZL15flash_attn_tileILi512ELi512ELi2ELi8ELb0EEvPKcS1_S1_S1_S1_PKiPfP15HIP_vector_typeIfLj2EEffffjfiS5_IjLj3EEiiiiiiiiiiiliiliiiiil.kd
    .uniform_work_group_size: 1
    .uses_dynamic_stack: false
    .vgpr_count:     155
    .vgpr_spill_count: 0
    .wavefront_size: 64
  - .agpr_count:     0
    .args:
      - .actual_access:  read_only
        .address_space:  global
        .offset:         0
        .size:           8
        .value_kind:     global_buffer
      - .actual_access:  write_only
        .address_space:  global
        .offset:         8
        .size:           8
        .value_kind:     global_buffer
      - .offset:         16
        .size:           4
        .value_kind:     by_value
      - .offset:         20
        .size:           4
        .value_kind:     by_value
      - .offset:         24
        .size:           4
        .value_kind:     by_value
      - .offset:         32
        .size:           4
        .value_kind:     hidden_block_count_x
      - .offset:         36
        .size:           4
        .value_kind:     hidden_block_count_y
      - .offset:         40
        .size:           4
        .value_kind:     hidden_block_count_z
      - .offset:         44
        .size:           2
        .value_kind:     hidden_group_size_x
      - .offset:         46
        .size:           2
        .value_kind:     hidden_group_size_y
      - .offset:         48
        .size:           2
        .value_kind:     hidden_group_size_z
      - .offset:         50
        .size:           2
        .value_kind:     hidden_remainder_x
      - .offset:         52
        .size:           2
        .value_kind:     hidden_remainder_y
      - .offset:         54
        .size:           2
        .value_kind:     hidden_remainder_z
      - .offset:         72
        .size:           8
        .value_kind:     hidden_global_offset_x
      - .offset:         80
        .size:           8
        .value_kind:     hidden_global_offset_y
      - .offset:         88
        .size:           8
        .value_kind:     hidden_global_offset_z
      - .offset:         96
        .size:           2
        .value_kind:     hidden_grid_dims
    .group_segment_fixed_size: 128
    .kernarg_segment_align: 8
    .kernarg_segment_size: 288
    .language:       OpenCL C
    .language_version:
      - 2
      - 0
    .max_flat_workgroup_size: 128
    .name:           _ZL25flash_attn_mask_to_KV_maxILi2EEvPK7__half2Piiii
    .private_segment_fixed_size: 0
    .sgpr_count:     30
    .sgpr_spill_count: 0
    .symbol:         _ZL25flash_attn_mask_to_KV_maxILi2EEvPK7__half2Piiii.kd
    .uniform_work_group_size: 1
    .uses_dynamic_stack: false
    .vgpr_count:     17
    .vgpr_spill_count: 0
    .wavefront_size: 64
  - .agpr_count:     0
    .args:
      - .address_space:  global
        .offset:         0
        .size:           8
        .value_kind:     global_buffer
      - .address_space:  global
        .offset:         8
        .size:           8
        .value_kind:     global_buffer
      - .offset:         16
        .size:           4
        .value_kind:     by_value
      - .offset:         20
        .size:           4
        .value_kind:     by_value
      - .offset:         24
        .size:           4
        .value_kind:     by_value
      - .offset:         28
        .size:           4
        .value_kind:     by_value
      - .offset:         32
        .size:           4
        .value_kind:     by_value
      - .offset:         36
        .size:           4
        .value_kind:     by_value
      - .offset:         40
        .size:           12
        .value_kind:     by_value
      - .offset:         52
        .size:           12
        .value_kind:     by_value
      - .offset:         64
        .size:           12
        .value_kind:     by_value
    .group_segment_fixed_size: 0
    .kernarg_segment_align: 8
    .kernarg_segment_size: 76
    .language:       OpenCL C
    .language_version:
      - 2
      - 0
    .max_flat_workgroup_size: 512
    .name:           _ZL33flash_attn_stream_k_fixup_uniformILi512ELi2ELi8EEvPfPK15HIP_vector_typeIfLj2EEiiiiiiS1_IjLj3EES5_S5_
    .private_segment_fixed_size: 0
    .sgpr_count:     24
    .sgpr_spill_count: 0
    .symbol:         _ZL33flash_attn_stream_k_fixup_uniformILi512ELi2ELi8EEvPfPK15HIP_vector_typeIfLj2EEiiiiiiS1_IjLj3EES5_S5_.kd
    .uniform_work_group_size: 1
    .uses_dynamic_stack: false
    .vgpr_count:     17
    .vgpr_spill_count: 0
    .wavefront_size: 64
  - .agpr_count:     0
    .args:
      - .address_space:  global
        .offset:         0
        .size:           8
        .value_kind:     global_buffer
      - .address_space:  global
        .offset:         8
        .size:           8
        .value_kind:     global_buffer
      - .offset:         16
        .size:           4
        .value_kind:     by_value
      - .offset:         20
        .size:           4
        .value_kind:     by_value
      - .offset:         24
        .size:           4
        .value_kind:     by_value
      - .offset:         28
        .size:           4
        .value_kind:     by_value
      - .offset:         32
        .size:           12
        .value_kind:     by_value
      - .offset:         44
        .size:           12
        .value_kind:     by_value
      - .offset:         56
        .size:           12
        .value_kind:     by_value
      - .offset:         68
        .size:           12
        .value_kind:     by_value
      - .offset:         80
        .size:           4
        .value_kind:     hidden_block_count_x
      - .offset:         84
        .size:           4
        .value_kind:     hidden_block_count_y
      - .offset:         88
        .size:           4
        .value_kind:     hidden_block_count_z
      - .offset:         92
        .size:           2
        .value_kind:     hidden_group_size_x
      - .offset:         94
        .size:           2
        .value_kind:     hidden_group_size_y
      - .offset:         96
        .size:           2
        .value_kind:     hidden_group_size_z
      - .offset:         98
        .size:           2
        .value_kind:     hidden_remainder_x
      - .offset:         100
        .size:           2
        .value_kind:     hidden_remainder_y
      - .offset:         102
        .size:           2
        .value_kind:     hidden_remainder_z
      - .offset:         120
        .size:           8
        .value_kind:     hidden_global_offset_x
      - .offset:         128
        .size:           8
        .value_kind:     hidden_global_offset_y
      - .offset:         136
        .size:           8
        .value_kind:     hidden_global_offset_z
      - .offset:         144
        .size:           2
        .value_kind:     hidden_grid_dims
    .group_segment_fixed_size: 0
    .kernarg_segment_align: 8
    .kernarg_segment_size: 336
    .language:       OpenCL C
    .language_version:
      - 2
      - 0
    .max_flat_workgroup_size: 512
    .name:           _ZL33flash_attn_stream_k_fixup_generalILi512ELi2ELi8EEvPfPK15HIP_vector_typeIfLj2EEiiiiS1_IjLj3EES5_S5_S5_
    .private_segment_fixed_size: 0
    .sgpr_count:     36
    .sgpr_spill_count: 0
    .symbol:         _ZL33flash_attn_stream_k_fixup_generalILi512ELi2ELi8EEvPfPK15HIP_vector_typeIfLj2EEiiiiS1_IjLj3EES5_S5_S5_.kd
    .uniform_work_group_size: 1
    .uses_dynamic_stack: false
    .vgpr_count:     22
    .vgpr_spill_count: 0
    .wavefront_size: 64
  - .agpr_count:     0
    .args:
      - .address_space:  global
        .offset:         0
        .size:           8
        .value_kind:     global_buffer
      - .address_space:  global
        .offset:         8
        .size:           8
        .value_kind:     global_buffer
      - .address_space:  global
        .offset:         16
        .size:           8
        .value_kind:     global_buffer
      - .address_space:  global
        .offset:         24
        .size:           8
        .value_kind:     global_buffer
      - .address_space:  global
        .offset:         32
        .size:           8
        .value_kind:     global_buffer
      - .address_space:  global
        .offset:         40
        .size:           8
        .value_kind:     global_buffer
      - .address_space:  global
        .offset:         48
        .size:           8
        .value_kind:     global_buffer
      - .address_space:  global
        .offset:         56
        .size:           8
        .value_kind:     global_buffer
      - .offset:         64
        .size:           4
        .value_kind:     by_value
      - .offset:         68
        .size:           4
        .value_kind:     by_value
      - .offset:         72
        .size:           4
        .value_kind:     by_value
      - .offset:         76
        .size:           4
        .value_kind:     by_value
      - .offset:         80
        .size:           4
        .value_kind:     by_value
      - .offset:         84
        .size:           4
        .value_kind:     by_value
      - .offset:         88
        .size:           4
        .value_kind:     by_value
      - .offset:         92
        .size:           12
        .value_kind:     by_value
      - .offset:         104
        .size:           4
        .value_kind:     by_value
      - .offset:         108
        .size:           4
        .value_kind:     by_value
      - .offset:         112
        .size:           4
        .value_kind:     by_value
      - .offset:         116
        .size:           4
        .value_kind:     by_value
      - .offset:         120
        .size:           4
        .value_kind:     by_value
      - .offset:         124
        .size:           4
        .value_kind:     by_value
      - .offset:         128
        .size:           4
        .value_kind:     by_value
      - .offset:         132
        .size:           4
        .value_kind:     by_value
      - .offset:         136
        .size:           4
        .value_kind:     by_value
      - .offset:         140
        .size:           4
        .value_kind:     by_value
      - .offset:         144
        .size:           4
        .value_kind:     by_value
      - .offset:         152
        .size:           8
        .value_kind:     by_value
      - .offset:         160
        .size:           4
        .value_kind:     by_value
      - .offset:         164
        .size:           4
        .value_kind:     by_value
      - .offset:         168
        .size:           8
        .value_kind:     by_value
      - .offset:         176
        .size:           4
        .value_kind:     by_value
      - .offset:         180
        .size:           4
        .value_kind:     by_value
      - .offset:         184
        .size:           4
        .value_kind:     by_value
      - .offset:         188
        .size:           4
        .value_kind:     by_value
      - .offset:         192
        .size:           4
        .value_kind:     by_value
      - .offset:         200
        .size:           8
        .value_kind:     by_value
      - .offset:         208
        .size:           4
        .value_kind:     hidden_block_count_x
      - .offset:         212
        .size:           4
        .value_kind:     hidden_block_count_y
      - .offset:         216
        .size:           4
        .value_kind:     hidden_block_count_z
      - .offset:         220
        .size:           2
        .value_kind:     hidden_group_size_x
      - .offset:         222
        .size:           2
        .value_kind:     hidden_group_size_y
      - .offset:         224
        .size:           2
        .value_kind:     hidden_group_size_z
      - .offset:         226
        .size:           2
        .value_kind:     hidden_remainder_x
      - .offset:         228
        .size:           2
        .value_kind:     hidden_remainder_y
      - .offset:         230
        .size:           2
        .value_kind:     hidden_remainder_z
      - .offset:         248
        .size:           8
        .value_kind:     hidden_global_offset_x
      - .offset:         256
        .size:           8
        .value_kind:     hidden_global_offset_y
      - .offset:         264
        .size:           8
        .value_kind:     hidden_global_offset_z
      - .offset:         272
        .size:           2
        .value_kind:     hidden_grid_dims
    .group_segment_fixed_size: 18432
    .kernarg_segment_align: 8
    .kernarg_segment_size: 464
    .language:       OpenCL C
    .language_version:
      - 2
      - 0
    .max_flat_workgroup_size: 256
    .name:           _ZL15flash_attn_tileILi512ELi512ELi1ELi8ELb0EEvPKcS1_S1_S1_S1_PKiPfP15HIP_vector_typeIfLj2EEffffjfiS5_IjLj3EEiiiiiiiiiiiliiliiiiil
    .private_segment_fixed_size: 0
    .sgpr_count:     49
    .sgpr_spill_count: 0
    .symbol:         _ZL15flash_attn_tileILi512ELi512ELi1ELi8ELb0EEvPKcS1_S1_S1_S1_PKiPfP15HIP_vector_typeIfLj2EEffffjfiS5_IjLj3EEiiiiiiiiiiiliiliiiiil.kd
    .uniform_work_group_size: 1
    .uses_dynamic_stack: false
    .vgpr_count:     139
    .vgpr_spill_count: 0
    .wavefront_size: 64
  - .agpr_count:     0
    .args:
      - .actual_access:  read_only
        .address_space:  global
        .offset:         0
        .size:           8
        .value_kind:     global_buffer
      - .actual_access:  write_only
        .address_space:  global
        .offset:         8
        .size:           8
        .value_kind:     global_buffer
      - .offset:         16
        .size:           4
        .value_kind:     by_value
      - .offset:         20
        .size:           4
        .value_kind:     by_value
      - .offset:         24
        .size:           4
        .value_kind:     by_value
      - .offset:         32
        .size:           4
        .value_kind:     hidden_block_count_x
      - .offset:         36
        .size:           4
        .value_kind:     hidden_block_count_y
      - .offset:         40
        .size:           4
        .value_kind:     hidden_block_count_z
      - .offset:         44
        .size:           2
        .value_kind:     hidden_group_size_x
      - .offset:         46
        .size:           2
        .value_kind:     hidden_group_size_y
      - .offset:         48
        .size:           2
        .value_kind:     hidden_group_size_z
      - .offset:         50
        .size:           2
        .value_kind:     hidden_remainder_x
      - .offset:         52
        .size:           2
        .value_kind:     hidden_remainder_y
      - .offset:         54
        .size:           2
        .value_kind:     hidden_remainder_z
      - .offset:         72
        .size:           8
        .value_kind:     hidden_global_offset_x
      - .offset:         80
        .size:           8
        .value_kind:     hidden_global_offset_y
      - .offset:         88
        .size:           8
        .value_kind:     hidden_global_offset_z
      - .offset:         96
        .size:           2
        .value_kind:     hidden_grid_dims
    .group_segment_fixed_size: 128
    .kernarg_segment_align: 8
    .kernarg_segment_size: 288
    .language:       OpenCL C
    .language_version:
      - 2
      - 0
    .max_flat_workgroup_size: 128
    .name:           _ZL25flash_attn_mask_to_KV_maxILi1EEvPK7__half2Piiii
    .private_segment_fixed_size: 0
    .sgpr_count:     24
    .sgpr_spill_count: 0
    .symbol:         _ZL25flash_attn_mask_to_KV_maxILi1EEvPK7__half2Piiii.kd
    .uniform_work_group_size: 1
    .uses_dynamic_stack: false
    .vgpr_count:     18
    .vgpr_spill_count: 0
    .wavefront_size: 64
  - .agpr_count:     0
    .args:
      - .address_space:  global
        .offset:         0
        .size:           8
        .value_kind:     global_buffer
      - .address_space:  global
        .offset:         8
        .size:           8
        .value_kind:     global_buffer
      - .offset:         16
        .size:           4
        .value_kind:     by_value
      - .offset:         20
        .size:           4
        .value_kind:     by_value
      - .offset:         24
        .size:           4
        .value_kind:     by_value
      - .offset:         28
        .size:           4
        .value_kind:     by_value
      - .offset:         32
        .size:           4
        .value_kind:     by_value
      - .offset:         36
        .size:           4
        .value_kind:     by_value
      - .offset:         40
        .size:           12
        .value_kind:     by_value
      - .offset:         52
        .size:           12
        .value_kind:     by_value
      - .offset:         64
        .size:           12
        .value_kind:     by_value
    .group_segment_fixed_size: 0
    .kernarg_segment_align: 8
    .kernarg_segment_size: 76
    .language:       OpenCL C
    .language_version:
      - 2
      - 0
    .max_flat_workgroup_size: 512
    .name:           _ZL33flash_attn_stream_k_fixup_uniformILi512ELi1ELi8EEvPfPK15HIP_vector_typeIfLj2EEiiiiiiS1_IjLj3EES5_S5_
    .private_segment_fixed_size: 0
    .sgpr_count:     24
    .sgpr_spill_count: 0
    .symbol:         _ZL33flash_attn_stream_k_fixup_uniformILi512ELi1ELi8EEvPfPK15HIP_vector_typeIfLj2EEiiiiiiS1_IjLj3EES5_S5_.kd
    .uniform_work_group_size: 1
    .uses_dynamic_stack: false
    .vgpr_count:     17
    .vgpr_spill_count: 0
    .wavefront_size: 64
  - .agpr_count:     0
    .args:
      - .address_space:  global
        .offset:         0
        .size:           8
        .value_kind:     global_buffer
      - .address_space:  global
        .offset:         8
        .size:           8
        .value_kind:     global_buffer
      - .offset:         16
        .size:           4
        .value_kind:     by_value
      - .offset:         20
        .size:           4
        .value_kind:     by_value
      - .offset:         24
        .size:           4
        .value_kind:     by_value
      - .offset:         28
        .size:           4
        .value_kind:     by_value
      - .offset:         32
        .size:           12
        .value_kind:     by_value
      - .offset:         44
        .size:           12
        .value_kind:     by_value
      - .offset:         56
        .size:           12
        .value_kind:     by_value
      - .offset:         68
        .size:           12
        .value_kind:     by_value
      - .offset:         80
        .size:           4
        .value_kind:     hidden_block_count_x
      - .offset:         84
        .size:           4
        .value_kind:     hidden_block_count_y
      - .offset:         88
        .size:           4
        .value_kind:     hidden_block_count_z
      - .offset:         92
        .size:           2
        .value_kind:     hidden_group_size_x
      - .offset:         94
        .size:           2
        .value_kind:     hidden_group_size_y
      - .offset:         96
        .size:           2
        .value_kind:     hidden_group_size_z
      - .offset:         98
        .size:           2
        .value_kind:     hidden_remainder_x
      - .offset:         100
        .size:           2
        .value_kind:     hidden_remainder_y
      - .offset:         102
        .size:           2
        .value_kind:     hidden_remainder_z
      - .offset:         120
        .size:           8
        .value_kind:     hidden_global_offset_x
      - .offset:         128
        .size:           8
        .value_kind:     hidden_global_offset_y
      - .offset:         136
        .size:           8
        .value_kind:     hidden_global_offset_z
      - .offset:         144
        .size:           2
        .value_kind:     hidden_grid_dims
    .group_segment_fixed_size: 0
    .kernarg_segment_align: 8
    .kernarg_segment_size: 336
    .language:       OpenCL C
    .language_version:
      - 2
      - 0
    .max_flat_workgroup_size: 512
    .name:           _ZL33flash_attn_stream_k_fixup_generalILi512ELi1ELi8EEvPfPK15HIP_vector_typeIfLj2EEiiiiS1_IjLj3EES5_S5_S5_
    .private_segment_fixed_size: 0
    .sgpr_count:     36
    .sgpr_spill_count: 0
    .symbol:         _ZL33flash_attn_stream_k_fixup_generalILi512ELi1ELi8EEvPfPK15HIP_vector_typeIfLj2EEiiiiS1_IjLj3EES5_S5_S5_.kd
    .uniform_work_group_size: 1
    .uses_dynamic_stack: false
    .vgpr_count:     22
    .vgpr_spill_count: 0
    .wavefront_size: 64
  - .agpr_count:     0
    .args:
      - .address_space:  global
        .offset:         0
        .size:           8
        .value_kind:     global_buffer
      - .address_space:  global
        .offset:         8
        .size:           8
        .value_kind:     global_buffer
      - .address_space:  global
        .offset:         16
        .size:           8
        .value_kind:     global_buffer
      - .address_space:  global
        .offset:         24
        .size:           8
        .value_kind:     global_buffer
      - .address_space:  global
        .offset:         32
        .size:           8
        .value_kind:     global_buffer
      - .address_space:  global
        .offset:         40
        .size:           8
        .value_kind:     global_buffer
      - .address_space:  global
        .offset:         48
        .size:           8
        .value_kind:     global_buffer
      - .address_space:  global
        .offset:         56
        .size:           8
        .value_kind:     global_buffer
      - .offset:         64
        .size:           4
        .value_kind:     by_value
      - .offset:         68
        .size:           4
        .value_kind:     by_value
      - .offset:         72
        .size:           4
        .value_kind:     by_value
      - .offset:         76
        .size:           4
        .value_kind:     by_value
      - .offset:         80
        .size:           4
        .value_kind:     by_value
      - .offset:         84
        .size:           4
        .value_kind:     by_value
      - .offset:         88
        .size:           4
        .value_kind:     by_value
      - .offset:         92
        .size:           12
        .value_kind:     by_value
      - .offset:         104
        .size:           4
        .value_kind:     by_value
      - .offset:         108
        .size:           4
        .value_kind:     by_value
      - .offset:         112
        .size:           4
        .value_kind:     by_value
      - .offset:         116
        .size:           4
        .value_kind:     by_value
      - .offset:         120
        .size:           4
        .value_kind:     by_value
      - .offset:         124
        .size:           4
        .value_kind:     by_value
      - .offset:         128
        .size:           4
        .value_kind:     by_value
      - .offset:         132
        .size:           4
        .value_kind:     by_value
      - .offset:         136
        .size:           4
        .value_kind:     by_value
      - .offset:         140
        .size:           4
        .value_kind:     by_value
      - .offset:         144
        .size:           4
        .value_kind:     by_value
      - .offset:         152
        .size:           8
        .value_kind:     by_value
      - .offset:         160
        .size:           4
        .value_kind:     by_value
      - .offset:         164
        .size:           4
        .value_kind:     by_value
      - .offset:         168
        .size:           8
        .value_kind:     by_value
      - .offset:         176
        .size:           4
        .value_kind:     by_value
      - .offset:         180
        .size:           4
        .value_kind:     by_value
      - .offset:         184
        .size:           4
        .value_kind:     by_value
      - .offset:         188
        .size:           4
        .value_kind:     by_value
      - .offset:         192
        .size:           4
        .value_kind:     by_value
      - .offset:         200
        .size:           8
        .value_kind:     by_value
      - .offset:         208
        .size:           4
        .value_kind:     hidden_block_count_x
      - .offset:         212
        .size:           4
        .value_kind:     hidden_block_count_y
      - .offset:         216
        .size:           4
        .value_kind:     hidden_block_count_z
      - .offset:         220
        .size:           2
        .value_kind:     hidden_group_size_x
      - .offset:         222
        .size:           2
        .value_kind:     hidden_group_size_y
      - .offset:         224
        .size:           2
        .value_kind:     hidden_group_size_z
      - .offset:         226
        .size:           2
        .value_kind:     hidden_remainder_x
      - .offset:         228
        .size:           2
        .value_kind:     hidden_remainder_y
      - .offset:         230
        .size:           2
        .value_kind:     hidden_remainder_z
      - .offset:         248
        .size:           8
        .value_kind:     hidden_global_offset_x
      - .offset:         256
        .size:           8
        .value_kind:     hidden_global_offset_y
      - .offset:         264
        .size:           8
        .value_kind:     hidden_global_offset_z
      - .offset:         272
        .size:           2
        .value_kind:     hidden_grid_dims
    .group_segment_fixed_size: 59392
    .kernarg_segment_align: 8
    .kernarg_segment_size: 464
    .language:       OpenCL C
    .language_version:
      - 2
      - 0
    .max_flat_workgroup_size: 512
    .name:           _ZL15flash_attn_tileILi512ELi512ELi8ELi4ELb0EEvPKcS1_S1_S1_S1_PKiPfP15HIP_vector_typeIfLj2EEffffjfiS5_IjLj3EEiiiiiiiiiiiliiliiiiil
    .private_segment_fixed_size: 0
    .sgpr_count:     50
    .sgpr_spill_count: 0
    .symbol:         _ZL15flash_attn_tileILi512ELi512ELi8ELi4ELb0EEvPKcS1_S1_S1_S1_PKiPfP15HIP_vector_typeIfLj2EEffffjfiS5_IjLj3EEiiiiiiiiiiiliiliiiiil.kd
    .uniform_work_group_size: 1
    .uses_dynamic_stack: false
    .vgpr_count:     234
    .vgpr_spill_count: 0
    .wavefront_size: 64
  - .agpr_count:     0
    .args:
      - .actual_access:  read_only
        .address_space:  global
        .offset:         0
        .size:           8
        .value_kind:     global_buffer
      - .actual_access:  write_only
        .address_space:  global
        .offset:         8
        .size:           8
        .value_kind:     global_buffer
      - .offset:         16
        .size:           4
        .value_kind:     by_value
      - .offset:         20
        .size:           4
        .value_kind:     by_value
      - .offset:         24
        .size:           4
        .value_kind:     by_value
      - .offset:         32
        .size:           4
        .value_kind:     hidden_block_count_x
      - .offset:         36
        .size:           4
        .value_kind:     hidden_block_count_y
      - .offset:         40
        .size:           4
        .value_kind:     hidden_block_count_z
      - .offset:         44
        .size:           2
        .value_kind:     hidden_group_size_x
      - .offset:         46
        .size:           2
        .value_kind:     hidden_group_size_y
      - .offset:         48
        .size:           2
        .value_kind:     hidden_group_size_z
      - .offset:         50
        .size:           2
        .value_kind:     hidden_remainder_x
      - .offset:         52
        .size:           2
        .value_kind:     hidden_remainder_y
      - .offset:         54
        .size:           2
        .value_kind:     hidden_remainder_z
      - .offset:         72
        .size:           8
        .value_kind:     hidden_global_offset_x
      - .offset:         80
        .size:           8
        .value_kind:     hidden_global_offset_y
      - .offset:         88
        .size:           8
        .value_kind:     hidden_global_offset_z
      - .offset:         96
        .size:           2
        .value_kind:     hidden_grid_dims
    .group_segment_fixed_size: 128
    .kernarg_segment_align: 8
    .kernarg_segment_size: 288
    .language:       OpenCL C
    .language_version:
      - 2
      - 0
    .max_flat_workgroup_size: 128
    .name:           _ZL25flash_attn_mask_to_KV_maxILi8EEvPK7__half2Piiii
    .private_segment_fixed_size: 0
    .sgpr_count:     54
    .sgpr_spill_count: 0
    .symbol:         _ZL25flash_attn_mask_to_KV_maxILi8EEvPK7__half2Piiii.kd
    .uniform_work_group_size: 1
    .uses_dynamic_stack: false
    .vgpr_count:     13
    .vgpr_spill_count: 0
    .wavefront_size: 64
  - .agpr_count:     0
    .args:
      - .address_space:  global
        .offset:         0
        .size:           8
        .value_kind:     global_buffer
      - .address_space:  global
        .offset:         8
        .size:           8
        .value_kind:     global_buffer
      - .offset:         16
        .size:           4
        .value_kind:     by_value
      - .offset:         20
        .size:           4
        .value_kind:     by_value
      - .offset:         24
        .size:           4
        .value_kind:     by_value
      - .offset:         28
        .size:           4
        .value_kind:     by_value
      - .offset:         32
        .size:           4
        .value_kind:     by_value
      - .offset:         36
        .size:           4
        .value_kind:     by_value
      - .offset:         40
        .size:           12
        .value_kind:     by_value
      - .offset:         52
        .size:           12
        .value_kind:     by_value
      - .offset:         64
        .size:           12
        .value_kind:     by_value
    .group_segment_fixed_size: 0
    .kernarg_segment_align: 8
    .kernarg_segment_size: 76
    .language:       OpenCL C
    .language_version:
      - 2
      - 0
    .max_flat_workgroup_size: 512
    .name:           _ZL33flash_attn_stream_k_fixup_uniformILi512ELi8ELi4EEvPfPK15HIP_vector_typeIfLj2EEiiiiiiS1_IjLj3EES5_S5_
    .private_segment_fixed_size: 0
    .sgpr_count:     24
    .sgpr_spill_count: 0
    .symbol:         _ZL33flash_attn_stream_k_fixup_uniformILi512ELi8ELi4EEvPfPK15HIP_vector_typeIfLj2EEiiiiiiS1_IjLj3EES5_S5_.kd
    .uniform_work_group_size: 1
    .uses_dynamic_stack: false
    .vgpr_count:     17
    .vgpr_spill_count: 0
    .wavefront_size: 64
  - .agpr_count:     0
    .args:
      - .address_space:  global
        .offset:         0
        .size:           8
        .value_kind:     global_buffer
      - .address_space:  global
        .offset:         8
        .size:           8
        .value_kind:     global_buffer
      - .offset:         16
        .size:           4
        .value_kind:     by_value
      - .offset:         20
        .size:           4
        .value_kind:     by_value
      - .offset:         24
        .size:           4
        .value_kind:     by_value
      - .offset:         28
        .size:           4
        .value_kind:     by_value
      - .offset:         32
        .size:           12
        .value_kind:     by_value
      - .offset:         44
        .size:           12
        .value_kind:     by_value
      - .offset:         56
        .size:           12
        .value_kind:     by_value
      - .offset:         68
        .size:           12
        .value_kind:     by_value
      - .offset:         80
        .size:           4
        .value_kind:     hidden_block_count_x
      - .offset:         84
        .size:           4
        .value_kind:     hidden_block_count_y
      - .offset:         88
        .size:           4
        .value_kind:     hidden_block_count_z
      - .offset:         92
        .size:           2
        .value_kind:     hidden_group_size_x
      - .offset:         94
        .size:           2
        .value_kind:     hidden_group_size_y
      - .offset:         96
        .size:           2
        .value_kind:     hidden_group_size_z
      - .offset:         98
        .size:           2
        .value_kind:     hidden_remainder_x
      - .offset:         100
        .size:           2
        .value_kind:     hidden_remainder_y
      - .offset:         102
        .size:           2
        .value_kind:     hidden_remainder_z
      - .offset:         120
        .size:           8
        .value_kind:     hidden_global_offset_x
      - .offset:         128
        .size:           8
        .value_kind:     hidden_global_offset_y
      - .offset:         136
        .size:           8
        .value_kind:     hidden_global_offset_z
      - .offset:         144
        .size:           2
        .value_kind:     hidden_grid_dims
    .group_segment_fixed_size: 0
    .kernarg_segment_align: 8
    .kernarg_segment_size: 336
    .language:       OpenCL C
    .language_version:
      - 2
      - 0
    .max_flat_workgroup_size: 512
    .name:           _ZL33flash_attn_stream_k_fixup_generalILi512ELi8ELi4EEvPfPK15HIP_vector_typeIfLj2EEiiiiS1_IjLj3EES5_S5_S5_
    .private_segment_fixed_size: 0
    .sgpr_count:     36
    .sgpr_spill_count: 0
    .symbol:         _ZL33flash_attn_stream_k_fixup_generalILi512ELi8ELi4EEvPfPK15HIP_vector_typeIfLj2EEiiiiS1_IjLj3EES5_S5_S5_.kd
    .uniform_work_group_size: 1
    .uses_dynamic_stack: false
    .vgpr_count:     22
    .vgpr_spill_count: 0
    .wavefront_size: 64
  - .agpr_count:     0
    .args:
      - .address_space:  global
        .offset:         0
        .size:           8
        .value_kind:     global_buffer
      - .address_space:  global
        .offset:         8
        .size:           8
        .value_kind:     global_buffer
      - .address_space:  global
        .offset:         16
        .size:           8
        .value_kind:     global_buffer
      - .address_space:  global
        .offset:         24
        .size:           8
        .value_kind:     global_buffer
      - .address_space:  global
        .offset:         32
        .size:           8
        .value_kind:     global_buffer
      - .address_space:  global
        .offset:         40
        .size:           8
        .value_kind:     global_buffer
      - .address_space:  global
        .offset:         48
        .size:           8
        .value_kind:     global_buffer
      - .address_space:  global
        .offset:         56
        .size:           8
        .value_kind:     global_buffer
      - .offset:         64
        .size:           4
        .value_kind:     by_value
      - .offset:         68
        .size:           4
        .value_kind:     by_value
      - .offset:         72
        .size:           4
        .value_kind:     by_value
      - .offset:         76
        .size:           4
        .value_kind:     by_value
      - .offset:         80
        .size:           4
        .value_kind:     by_value
      - .offset:         84
        .size:           4
        .value_kind:     by_value
      - .offset:         88
        .size:           4
        .value_kind:     by_value
      - .offset:         92
        .size:           12
        .value_kind:     by_value
      - .offset:         104
        .size:           4
        .value_kind:     by_value
      - .offset:         108
        .size:           4
        .value_kind:     by_value
      - .offset:         112
        .size:           4
        .value_kind:     by_value
      - .offset:         116
        .size:           4
        .value_kind:     by_value
      - .offset:         120
        .size:           4
        .value_kind:     by_value
      - .offset:         124
        .size:           4
        .value_kind:     by_value
      - .offset:         128
        .size:           4
        .value_kind:     by_value
      - .offset:         132
        .size:           4
        .value_kind:     by_value
      - .offset:         136
        .size:           4
        .value_kind:     by_value
      - .offset:         140
        .size:           4
        .value_kind:     by_value
      - .offset:         144
        .size:           4
        .value_kind:     by_value
      - .offset:         152
        .size:           8
        .value_kind:     by_value
      - .offset:         160
        .size:           4
        .value_kind:     by_value
      - .offset:         164
        .size:           4
        .value_kind:     by_value
      - .offset:         168
        .size:           8
        .value_kind:     by_value
      - .offset:         176
        .size:           4
        .value_kind:     by_value
      - .offset:         180
        .size:           4
        .value_kind:     by_value
      - .offset:         184
        .size:           4
        .value_kind:     by_value
      - .offset:         188
        .size:           4
        .value_kind:     by_value
      - .offset:         192
        .size:           4
        .value_kind:     by_value
      - .offset:         200
        .size:           8
        .value_kind:     by_value
      - .offset:         208
        .size:           4
        .value_kind:     hidden_block_count_x
      - .offset:         212
        .size:           4
        .value_kind:     hidden_block_count_y
      - .offset:         216
        .size:           4
        .value_kind:     hidden_block_count_z
      - .offset:         220
        .size:           2
        .value_kind:     hidden_group_size_x
      - .offset:         222
        .size:           2
        .value_kind:     hidden_group_size_y
      - .offset:         224
        .size:           2
        .value_kind:     hidden_group_size_z
      - .offset:         226
        .size:           2
        .value_kind:     hidden_remainder_x
      - .offset:         228
        .size:           2
        .value_kind:     hidden_remainder_y
      - .offset:         230
        .size:           2
        .value_kind:     hidden_remainder_z
      - .offset:         248
        .size:           8
        .value_kind:     hidden_global_offset_x
      - .offset:         256
        .size:           8
        .value_kind:     hidden_global_offset_y
      - .offset:         264
        .size:           8
        .value_kind:     hidden_global_offset_z
      - .offset:         272
        .size:           2
        .value_kind:     hidden_grid_dims
    .group_segment_fixed_size: 27648
    .kernarg_segment_align: 8
    .kernarg_segment_size: 464
    .language:       OpenCL C
    .language_version:
      - 2
      - 0
    .max_flat_workgroup_size: 256
    .name:           _ZL15flash_attn_tileILi512ELi512ELi4ELi4ELb0EEvPKcS1_S1_S1_S1_PKiPfP15HIP_vector_typeIfLj2EEffffjfiS5_IjLj3EEiiiiiiiiiiiliiliiiiil
    .private_segment_fixed_size: 0
    .sgpr_count:     50
    .sgpr_spill_count: 0
    .symbol:         _ZL15flash_attn_tileILi512ELi512ELi4ELi4ELb0EEvPKcS1_S1_S1_S1_PKiPfP15HIP_vector_typeIfLj2EEffffjfiS5_IjLj3EEiiiiiiiiiiiliiliiiiil.kd
    .uniform_work_group_size: 1
    .uses_dynamic_stack: false
    .vgpr_count:     155
    .vgpr_spill_count: 0
    .wavefront_size: 64
  - .agpr_count:     0
    .args:
      - .address_space:  global
        .offset:         0
        .size:           8
        .value_kind:     global_buffer
      - .address_space:  global
        .offset:         8
        .size:           8
        .value_kind:     global_buffer
      - .offset:         16
        .size:           4
        .value_kind:     by_value
      - .offset:         20
        .size:           4
        .value_kind:     by_value
      - .offset:         24
        .size:           4
        .value_kind:     by_value
      - .offset:         28
        .size:           4
        .value_kind:     by_value
      - .offset:         32
        .size:           4
        .value_kind:     by_value
      - .offset:         36
        .size:           4
        .value_kind:     by_value
      - .offset:         40
        .size:           12
        .value_kind:     by_value
      - .offset:         52
        .size:           12
        .value_kind:     by_value
      - .offset:         64
        .size:           12
        .value_kind:     by_value
    .group_segment_fixed_size: 0
    .kernarg_segment_align: 8
    .kernarg_segment_size: 76
    .language:       OpenCL C
    .language_version:
      - 2
      - 0
    .max_flat_workgroup_size: 512
    .name:           _ZL33flash_attn_stream_k_fixup_uniformILi512ELi4ELi4EEvPfPK15HIP_vector_typeIfLj2EEiiiiiiS1_IjLj3EES5_S5_
    .private_segment_fixed_size: 0
    .sgpr_count:     24
    .sgpr_spill_count: 0
    .symbol:         _ZL33flash_attn_stream_k_fixup_uniformILi512ELi4ELi4EEvPfPK15HIP_vector_typeIfLj2EEiiiiiiS1_IjLj3EES5_S5_.kd
    .uniform_work_group_size: 1
    .uses_dynamic_stack: false
    .vgpr_count:     17
    .vgpr_spill_count: 0
    .wavefront_size: 64
  - .agpr_count:     0
    .args:
      - .address_space:  global
        .offset:         0
        .size:           8
        .value_kind:     global_buffer
      - .address_space:  global
        .offset:         8
        .size:           8
        .value_kind:     global_buffer
      - .offset:         16
        .size:           4
        .value_kind:     by_value
      - .offset:         20
        .size:           4
        .value_kind:     by_value
      - .offset:         24
        .size:           4
        .value_kind:     by_value
      - .offset:         28
        .size:           4
        .value_kind:     by_value
      - .offset:         32
        .size:           12
        .value_kind:     by_value
      - .offset:         44
        .size:           12
        .value_kind:     by_value
      - .offset:         56
        .size:           12
        .value_kind:     by_value
      - .offset:         68
        .size:           12
        .value_kind:     by_value
      - .offset:         80
        .size:           4
        .value_kind:     hidden_block_count_x
      - .offset:         84
        .size:           4
        .value_kind:     hidden_block_count_y
      - .offset:         88
        .size:           4
        .value_kind:     hidden_block_count_z
      - .offset:         92
        .size:           2
        .value_kind:     hidden_group_size_x
      - .offset:         94
        .size:           2
        .value_kind:     hidden_group_size_y
      - .offset:         96
        .size:           2
        .value_kind:     hidden_group_size_z
      - .offset:         98
        .size:           2
        .value_kind:     hidden_remainder_x
      - .offset:         100
        .size:           2
        .value_kind:     hidden_remainder_y
      - .offset:         102
        .size:           2
        .value_kind:     hidden_remainder_z
      - .offset:         120
        .size:           8
        .value_kind:     hidden_global_offset_x
      - .offset:         128
        .size:           8
        .value_kind:     hidden_global_offset_y
      - .offset:         136
        .size:           8
        .value_kind:     hidden_global_offset_z
      - .offset:         144
        .size:           2
        .value_kind:     hidden_grid_dims
    .group_segment_fixed_size: 0
    .kernarg_segment_align: 8
    .kernarg_segment_size: 336
    .language:       OpenCL C
    .language_version:
      - 2
      - 0
    .max_flat_workgroup_size: 512
    .name:           _ZL33flash_attn_stream_k_fixup_generalILi512ELi4ELi4EEvPfPK15HIP_vector_typeIfLj2EEiiiiS1_IjLj3EES5_S5_S5_
    .private_segment_fixed_size: 0
    .sgpr_count:     36
    .sgpr_spill_count: 0
    .symbol:         _ZL33flash_attn_stream_k_fixup_generalILi512ELi4ELi4EEvPfPK15HIP_vector_typeIfLj2EEiiiiS1_IjLj3EES5_S5_S5_.kd
    .uniform_work_group_size: 1
    .uses_dynamic_stack: false
    .vgpr_count:     22
    .vgpr_spill_count: 0
    .wavefront_size: 64
  - .agpr_count:     0
    .args:
      - .address_space:  global
        .offset:         0
        .size:           8
        .value_kind:     global_buffer
      - .address_space:  global
        .offset:         8
        .size:           8
        .value_kind:     global_buffer
      - .address_space:  global
        .offset:         16
        .size:           8
        .value_kind:     global_buffer
      - .address_space:  global
        .offset:         24
        .size:           8
        .value_kind:     global_buffer
      - .address_space:  global
        .offset:         32
        .size:           8
        .value_kind:     global_buffer
      - .address_space:  global
        .offset:         40
        .size:           8
        .value_kind:     global_buffer
      - .address_space:  global
        .offset:         48
        .size:           8
        .value_kind:     global_buffer
      - .address_space:  global
        .offset:         56
        .size:           8
        .value_kind:     global_buffer
      - .offset:         64
        .size:           4
        .value_kind:     by_value
      - .offset:         68
        .size:           4
        .value_kind:     by_value
      - .offset:         72
        .size:           4
        .value_kind:     by_value
      - .offset:         76
        .size:           4
        .value_kind:     by_value
      - .offset:         80
        .size:           4
        .value_kind:     by_value
      - .offset:         84
        .size:           4
        .value_kind:     by_value
      - .offset:         88
        .size:           4
        .value_kind:     by_value
      - .offset:         92
        .size:           12
        .value_kind:     by_value
      - .offset:         104
        .size:           4
        .value_kind:     by_value
      - .offset:         108
        .size:           4
        .value_kind:     by_value
      - .offset:         112
        .size:           4
        .value_kind:     by_value
      - .offset:         116
        .size:           4
        .value_kind:     by_value
      - .offset:         120
        .size:           4
        .value_kind:     by_value
      - .offset:         124
        .size:           4
        .value_kind:     by_value
      - .offset:         128
        .size:           4
        .value_kind:     by_value
      - .offset:         132
        .size:           4
        .value_kind:     by_value
      - .offset:         136
        .size:           4
        .value_kind:     by_value
      - .offset:         140
        .size:           4
        .value_kind:     by_value
      - .offset:         144
        .size:           4
        .value_kind:     by_value
      - .offset:         152
        .size:           8
        .value_kind:     by_value
      - .offset:         160
        .size:           4
        .value_kind:     by_value
      - .offset:         164
        .size:           4
        .value_kind:     by_value
      - .offset:         168
        .size:           8
        .value_kind:     by_value
      - .offset:         176
        .size:           4
        .value_kind:     by_value
      - .offset:         180
        .size:           4
        .value_kind:     by_value
      - .offset:         184
        .size:           4
        .value_kind:     by_value
      - .offset:         188
        .size:           4
        .value_kind:     by_value
      - .offset:         192
        .size:           4
        .value_kind:     by_value
      - .offset:         200
        .size:           8
        .value_kind:     by_value
      - .offset:         208
        .size:           4
        .value_kind:     hidden_block_count_x
      - .offset:         212
        .size:           4
        .value_kind:     hidden_block_count_y
      - .offset:         216
        .size:           4
        .value_kind:     hidden_block_count_z
      - .offset:         220
        .size:           2
        .value_kind:     hidden_group_size_x
      - .offset:         222
        .size:           2
        .value_kind:     hidden_group_size_y
      - .offset:         224
        .size:           2
        .value_kind:     hidden_group_size_z
      - .offset:         226
        .size:           2
        .value_kind:     hidden_remainder_x
      - .offset:         228
        .size:           2
        .value_kind:     hidden_remainder_y
      - .offset:         230
        .size:           2
        .value_kind:     hidden_remainder_z
      - .offset:         248
        .size:           8
        .value_kind:     hidden_global_offset_x
      - .offset:         256
        .size:           8
        .value_kind:     hidden_global_offset_y
      - .offset:         264
        .size:           8
        .value_kind:     hidden_global_offset_z
      - .offset:         272
        .size:           2
        .value_kind:     hidden_grid_dims
    .group_segment_fixed_size: 18432
    .kernarg_segment_align: 8
    .kernarg_segment_size: 464
    .language:       OpenCL C
    .language_version:
      - 2
      - 0
    .max_flat_workgroup_size: 256
    .name:           _ZL15flash_attn_tileILi512ELi512ELi2ELi4ELb0EEvPKcS1_S1_S1_S1_PKiPfP15HIP_vector_typeIfLj2EEffffjfiS5_IjLj3EEiiiiiiiiiiiliiliiiiil
    .private_segment_fixed_size: 0
    .sgpr_count:     49
    .sgpr_spill_count: 0
    .symbol:         _ZL15flash_attn_tileILi512ELi512ELi2ELi4ELb0EEvPKcS1_S1_S1_S1_PKiPfP15HIP_vector_typeIfLj2EEffffjfiS5_IjLj3EEiiiiiiiiiiiliiliiiiil.kd
    .uniform_work_group_size: 1
    .uses_dynamic_stack: false
    .vgpr_count:     139
    .vgpr_spill_count: 0
    .wavefront_size: 64
  - .agpr_count:     0
    .args:
      - .address_space:  global
        .offset:         0
        .size:           8
        .value_kind:     global_buffer
      - .address_space:  global
        .offset:         8
        .size:           8
        .value_kind:     global_buffer
      - .offset:         16
        .size:           4
        .value_kind:     by_value
      - .offset:         20
        .size:           4
        .value_kind:     by_value
      - .offset:         24
        .size:           4
        .value_kind:     by_value
      - .offset:         28
        .size:           4
        .value_kind:     by_value
      - .offset:         32
        .size:           4
        .value_kind:     by_value
      - .offset:         36
        .size:           4
        .value_kind:     by_value
      - .offset:         40
        .size:           12
        .value_kind:     by_value
      - .offset:         52
        .size:           12
        .value_kind:     by_value
      - .offset:         64
        .size:           12
        .value_kind:     by_value
    .group_segment_fixed_size: 0
    .kernarg_segment_align: 8
    .kernarg_segment_size: 76
    .language:       OpenCL C
    .language_version:
      - 2
      - 0
    .max_flat_workgroup_size: 512
    .name:           _ZL33flash_attn_stream_k_fixup_uniformILi512ELi2ELi4EEvPfPK15HIP_vector_typeIfLj2EEiiiiiiS1_IjLj3EES5_S5_
    .private_segment_fixed_size: 0
    .sgpr_count:     24
    .sgpr_spill_count: 0
    .symbol:         _ZL33flash_attn_stream_k_fixup_uniformILi512ELi2ELi4EEvPfPK15HIP_vector_typeIfLj2EEiiiiiiS1_IjLj3EES5_S5_.kd
    .uniform_work_group_size: 1
    .uses_dynamic_stack: false
    .vgpr_count:     17
    .vgpr_spill_count: 0
    .wavefront_size: 64
  - .agpr_count:     0
    .args:
      - .address_space:  global
        .offset:         0
        .size:           8
        .value_kind:     global_buffer
      - .address_space:  global
        .offset:         8
        .size:           8
        .value_kind:     global_buffer
      - .offset:         16
        .size:           4
        .value_kind:     by_value
      - .offset:         20
        .size:           4
        .value_kind:     by_value
      - .offset:         24
        .size:           4
        .value_kind:     by_value
      - .offset:         28
        .size:           4
        .value_kind:     by_value
      - .offset:         32
        .size:           12
        .value_kind:     by_value
      - .offset:         44
        .size:           12
        .value_kind:     by_value
      - .offset:         56
        .size:           12
        .value_kind:     by_value
      - .offset:         68
        .size:           12
        .value_kind:     by_value
      - .offset:         80
        .size:           4
        .value_kind:     hidden_block_count_x
      - .offset:         84
        .size:           4
        .value_kind:     hidden_block_count_y
      - .offset:         88
        .size:           4
        .value_kind:     hidden_block_count_z
      - .offset:         92
        .size:           2
        .value_kind:     hidden_group_size_x
      - .offset:         94
        .size:           2
        .value_kind:     hidden_group_size_y
      - .offset:         96
        .size:           2
        .value_kind:     hidden_group_size_z
      - .offset:         98
        .size:           2
        .value_kind:     hidden_remainder_x
      - .offset:         100
        .size:           2
        .value_kind:     hidden_remainder_y
      - .offset:         102
        .size:           2
        .value_kind:     hidden_remainder_z
      - .offset:         120
        .size:           8
        .value_kind:     hidden_global_offset_x
      - .offset:         128
        .size:           8
        .value_kind:     hidden_global_offset_y
      - .offset:         136
        .size:           8
        .value_kind:     hidden_global_offset_z
      - .offset:         144
        .size:           2
        .value_kind:     hidden_grid_dims
    .group_segment_fixed_size: 0
    .kernarg_segment_align: 8
    .kernarg_segment_size: 336
    .language:       OpenCL C
    .language_version:
      - 2
      - 0
    .max_flat_workgroup_size: 512
    .name:           _ZL33flash_attn_stream_k_fixup_generalILi512ELi2ELi4EEvPfPK15HIP_vector_typeIfLj2EEiiiiS1_IjLj3EES5_S5_S5_
    .private_segment_fixed_size: 0
    .sgpr_count:     36
    .sgpr_spill_count: 0
    .symbol:         _ZL33flash_attn_stream_k_fixup_generalILi512ELi2ELi4EEvPfPK15HIP_vector_typeIfLj2EEiiiiS1_IjLj3EES5_S5_S5_.kd
    .uniform_work_group_size: 1
    .uses_dynamic_stack: false
    .vgpr_count:     22
    .vgpr_spill_count: 0
    .wavefront_size: 64
  - .agpr_count:     0
    .args:
      - .address_space:  global
        .offset:         0
        .size:           8
        .value_kind:     global_buffer
      - .address_space:  global
        .offset:         8
        .size:           8
        .value_kind:     global_buffer
      - .address_space:  global
        .offset:         16
        .size:           8
        .value_kind:     global_buffer
      - .address_space:  global
        .offset:         24
        .size:           8
        .value_kind:     global_buffer
      - .address_space:  global
        .offset:         32
        .size:           8
        .value_kind:     global_buffer
      - .address_space:  global
        .offset:         40
        .size:           8
        .value_kind:     global_buffer
      - .address_space:  global
        .offset:         48
        .size:           8
        .value_kind:     global_buffer
      - .address_space:  global
        .offset:         56
        .size:           8
        .value_kind:     global_buffer
      - .offset:         64
        .size:           4
        .value_kind:     by_value
      - .offset:         68
        .size:           4
        .value_kind:     by_value
      - .offset:         72
        .size:           4
        .value_kind:     by_value
      - .offset:         76
        .size:           4
        .value_kind:     by_value
      - .offset:         80
        .size:           4
        .value_kind:     by_value
      - .offset:         84
        .size:           4
        .value_kind:     by_value
      - .offset:         88
        .size:           4
        .value_kind:     by_value
      - .offset:         92
        .size:           12
        .value_kind:     by_value
      - .offset:         104
        .size:           4
        .value_kind:     by_value
      - .offset:         108
        .size:           4
        .value_kind:     by_value
      - .offset:         112
        .size:           4
        .value_kind:     by_value
      - .offset:         116
        .size:           4
        .value_kind:     by_value
      - .offset:         120
        .size:           4
        .value_kind:     by_value
      - .offset:         124
        .size:           4
        .value_kind:     by_value
      - .offset:         128
        .size:           4
        .value_kind:     by_value
      - .offset:         132
        .size:           4
        .value_kind:     by_value
      - .offset:         136
        .size:           4
        .value_kind:     by_value
      - .offset:         140
        .size:           4
        .value_kind:     by_value
      - .offset:         144
        .size:           4
        .value_kind:     by_value
      - .offset:         152
        .size:           8
        .value_kind:     by_value
      - .offset:         160
        .size:           4
        .value_kind:     by_value
      - .offset:         164
        .size:           4
        .value_kind:     by_value
      - .offset:         168
        .size:           8
        .value_kind:     by_value
      - .offset:         176
        .size:           4
        .value_kind:     by_value
      - .offset:         180
        .size:           4
        .value_kind:     by_value
      - .offset:         184
        .size:           4
        .value_kind:     by_value
      - .offset:         188
        .size:           4
        .value_kind:     by_value
      - .offset:         192
        .size:           4
        .value_kind:     by_value
      - .offset:         200
        .size:           8
        .value_kind:     by_value
      - .offset:         208
        .size:           4
        .value_kind:     hidden_block_count_x
      - .offset:         212
        .size:           4
        .value_kind:     hidden_block_count_y
      - .offset:         216
        .size:           4
        .value_kind:     hidden_block_count_z
      - .offset:         220
        .size:           2
        .value_kind:     hidden_group_size_x
      - .offset:         222
        .size:           2
        .value_kind:     hidden_group_size_y
      - .offset:         224
        .size:           2
        .value_kind:     hidden_group_size_z
      - .offset:         226
        .size:           2
        .value_kind:     hidden_remainder_x
      - .offset:         228
        .size:           2
        .value_kind:     hidden_remainder_y
      - .offset:         230
        .size:           2
        .value_kind:     hidden_remainder_z
      - .offset:         248
        .size:           8
        .value_kind:     hidden_global_offset_x
      - .offset:         256
        .size:           8
        .value_kind:     hidden_global_offset_y
      - .offset:         264
        .size:           8
        .value_kind:     hidden_global_offset_z
      - .offset:         272
        .size:           2
        .value_kind:     hidden_grid_dims
    .group_segment_fixed_size: 13824
    .kernarg_segment_align: 8
    .kernarg_segment_size: 464
    .language:       OpenCL C
    .language_version:
      - 2
      - 0
    .max_flat_workgroup_size: 128
    .name:           _ZL15flash_attn_tileILi512ELi512ELi1ELi4ELb0EEvPKcS1_S1_S1_S1_PKiPfP15HIP_vector_typeIfLj2EEffffjfiS5_IjLj3EEiiiiiiiiiiiliiliiiiil
    .private_segment_fixed_size: 0
    .sgpr_count:     48
    .sgpr_spill_count: 0
    .symbol:         _ZL15flash_attn_tileILi512ELi512ELi1ELi4ELb0EEvPKcS1_S1_S1_S1_PKiPfP15HIP_vector_typeIfLj2EEffffjfiS5_IjLj3EEiiiiiiiiiiiliiliiiiil.kd
    .uniform_work_group_size: 1
    .uses_dynamic_stack: false
    .vgpr_count:     166
    .vgpr_spill_count: 0
    .wavefront_size: 64
  - .agpr_count:     0
    .args:
      - .address_space:  global
        .offset:         0
        .size:           8
        .value_kind:     global_buffer
      - .address_space:  global
        .offset:         8
        .size:           8
        .value_kind:     global_buffer
      - .offset:         16
        .size:           4
        .value_kind:     by_value
      - .offset:         20
        .size:           4
        .value_kind:     by_value
      - .offset:         24
        .size:           4
        .value_kind:     by_value
      - .offset:         28
        .size:           4
        .value_kind:     by_value
      - .offset:         32
        .size:           4
        .value_kind:     by_value
      - .offset:         36
        .size:           4
        .value_kind:     by_value
      - .offset:         40
        .size:           12
        .value_kind:     by_value
      - .offset:         52
        .size:           12
        .value_kind:     by_value
      - .offset:         64
        .size:           12
        .value_kind:     by_value
    .group_segment_fixed_size: 0
    .kernarg_segment_align: 8
    .kernarg_segment_size: 76
    .language:       OpenCL C
    .language_version:
      - 2
      - 0
    .max_flat_workgroup_size: 512
    .name:           _ZL33flash_attn_stream_k_fixup_uniformILi512ELi1ELi4EEvPfPK15HIP_vector_typeIfLj2EEiiiiiiS1_IjLj3EES5_S5_
    .private_segment_fixed_size: 0
    .sgpr_count:     24
    .sgpr_spill_count: 0
    .symbol:         _ZL33flash_attn_stream_k_fixup_uniformILi512ELi1ELi4EEvPfPK15HIP_vector_typeIfLj2EEiiiiiiS1_IjLj3EES5_S5_.kd
    .uniform_work_group_size: 1
    .uses_dynamic_stack: false
    .vgpr_count:     17
    .vgpr_spill_count: 0
    .wavefront_size: 64
  - .agpr_count:     0
    .args:
      - .address_space:  global
        .offset:         0
        .size:           8
        .value_kind:     global_buffer
      - .address_space:  global
        .offset:         8
        .size:           8
        .value_kind:     global_buffer
      - .offset:         16
        .size:           4
        .value_kind:     by_value
      - .offset:         20
        .size:           4
        .value_kind:     by_value
      - .offset:         24
        .size:           4
        .value_kind:     by_value
      - .offset:         28
        .size:           4
        .value_kind:     by_value
      - .offset:         32
        .size:           12
        .value_kind:     by_value
      - .offset:         44
        .size:           12
        .value_kind:     by_value
      - .offset:         56
        .size:           12
        .value_kind:     by_value
      - .offset:         68
        .size:           12
        .value_kind:     by_value
      - .offset:         80
        .size:           4
        .value_kind:     hidden_block_count_x
      - .offset:         84
        .size:           4
        .value_kind:     hidden_block_count_y
      - .offset:         88
        .size:           4
        .value_kind:     hidden_block_count_z
      - .offset:         92
        .size:           2
        .value_kind:     hidden_group_size_x
      - .offset:         94
        .size:           2
        .value_kind:     hidden_group_size_y
      - .offset:         96
        .size:           2
        .value_kind:     hidden_group_size_z
      - .offset:         98
        .size:           2
        .value_kind:     hidden_remainder_x
      - .offset:         100
        .size:           2
        .value_kind:     hidden_remainder_y
      - .offset:         102
        .size:           2
        .value_kind:     hidden_remainder_z
      - .offset:         120
        .size:           8
        .value_kind:     hidden_global_offset_x
      - .offset:         128
        .size:           8
        .value_kind:     hidden_global_offset_y
      - .offset:         136
        .size:           8
        .value_kind:     hidden_global_offset_z
      - .offset:         144
        .size:           2
        .value_kind:     hidden_grid_dims
    .group_segment_fixed_size: 0
    .kernarg_segment_align: 8
    .kernarg_segment_size: 336
    .language:       OpenCL C
    .language_version:
      - 2
      - 0
    .max_flat_workgroup_size: 512
    .name:           _ZL33flash_attn_stream_k_fixup_generalILi512ELi1ELi4EEvPfPK15HIP_vector_typeIfLj2EEiiiiS1_IjLj3EES5_S5_S5_
    .private_segment_fixed_size: 0
    .sgpr_count:     36
    .sgpr_spill_count: 0
    .symbol:         _ZL33flash_attn_stream_k_fixup_generalILi512ELi1ELi4EEvPfPK15HIP_vector_typeIfLj2EEiiiiS1_IjLj3EES5_S5_S5_.kd
    .uniform_work_group_size: 1
    .uses_dynamic_stack: false
    .vgpr_count:     22
    .vgpr_spill_count: 0
    .wavefront_size: 64
  - .agpr_count:     0
    .args:
      - .address_space:  global
        .offset:         0
        .size:           8
        .value_kind:     global_buffer
      - .address_space:  global
        .offset:         8
        .size:           8
        .value_kind:     global_buffer
      - .address_space:  global
        .offset:         16
        .size:           8
        .value_kind:     global_buffer
      - .address_space:  global
        .offset:         24
        .size:           8
        .value_kind:     global_buffer
      - .address_space:  global
        .offset:         32
        .size:           8
        .value_kind:     global_buffer
      - .address_space:  global
        .offset:         40
        .size:           8
        .value_kind:     global_buffer
      - .address_space:  global
        .offset:         48
        .size:           8
        .value_kind:     global_buffer
      - .address_space:  global
        .offset:         56
        .size:           8
        .value_kind:     global_buffer
      - .offset:         64
        .size:           4
        .value_kind:     by_value
      - .offset:         68
        .size:           4
        .value_kind:     by_value
      - .offset:         72
        .size:           4
        .value_kind:     by_value
      - .offset:         76
        .size:           4
        .value_kind:     by_value
      - .offset:         80
        .size:           4
        .value_kind:     by_value
      - .offset:         84
        .size:           4
        .value_kind:     by_value
      - .offset:         88
        .size:           4
        .value_kind:     by_value
      - .offset:         92
        .size:           12
        .value_kind:     by_value
      - .offset:         104
        .size:           4
        .value_kind:     by_value
      - .offset:         108
        .size:           4
        .value_kind:     by_value
      - .offset:         112
        .size:           4
        .value_kind:     by_value
      - .offset:         116
        .size:           4
        .value_kind:     by_value
      - .offset:         120
        .size:           4
        .value_kind:     by_value
      - .offset:         124
        .size:           4
        .value_kind:     by_value
      - .offset:         128
        .size:           4
        .value_kind:     by_value
      - .offset:         132
        .size:           4
        .value_kind:     by_value
      - .offset:         136
        .size:           4
        .value_kind:     by_value
      - .offset:         140
        .size:           4
        .value_kind:     by_value
      - .offset:         144
        .size:           4
        .value_kind:     by_value
      - .offset:         152
        .size:           8
        .value_kind:     by_value
      - .offset:         160
        .size:           4
        .value_kind:     by_value
      - .offset:         164
        .size:           4
        .value_kind:     by_value
      - .offset:         168
        .size:           8
        .value_kind:     by_value
      - .offset:         176
        .size:           4
        .value_kind:     by_value
      - .offset:         180
        .size:           4
        .value_kind:     by_value
      - .offset:         184
        .size:           4
        .value_kind:     by_value
      - .offset:         188
        .size:           4
        .value_kind:     by_value
      - .offset:         192
        .size:           4
        .value_kind:     by_value
      - .offset:         200
        .size:           8
        .value_kind:     by_value
      - .offset:         208
        .size:           4
        .value_kind:     hidden_block_count_x
      - .offset:         212
        .size:           4
        .value_kind:     hidden_block_count_y
      - .offset:         216
        .size:           4
        .value_kind:     hidden_block_count_z
      - .offset:         220
        .size:           2
        .value_kind:     hidden_group_size_x
      - .offset:         222
        .size:           2
        .value_kind:     hidden_group_size_y
      - .offset:         224
        .size:           2
        .value_kind:     hidden_group_size_z
      - .offset:         226
        .size:           2
        .value_kind:     hidden_remainder_x
      - .offset:         228
        .size:           2
        .value_kind:     hidden_remainder_y
      - .offset:         230
        .size:           2
        .value_kind:     hidden_remainder_z
      - .offset:         248
        .size:           8
        .value_kind:     hidden_global_offset_x
      - .offset:         256
        .size:           8
        .value_kind:     hidden_global_offset_y
      - .offset:         264
        .size:           8
        .value_kind:     hidden_global_offset_z
      - .offset:         272
        .size:           2
        .value_kind:     hidden_grid_dims
    .group_segment_fixed_size: 59392
    .kernarg_segment_align: 8
    .kernarg_segment_size: 464
    .language:       OpenCL C
    .language_version:
      - 2
      - 0
    .max_flat_workgroup_size: 512
    .name:           _ZL15flash_attn_tileILi512ELi512ELi4ELi8ELb1EEvPKcS1_S1_S1_S1_PKiPfP15HIP_vector_typeIfLj2EEffffjfiS5_IjLj3EEiiiiiiiiiiiliiliiiiil
    .private_segment_fixed_size: 0
    .sgpr_count:     44
    .sgpr_spill_count: 0
    .symbol:         _ZL15flash_attn_tileILi512ELi512ELi4ELi8ELb1EEvPKcS1_S1_S1_S1_PKiPfP15HIP_vector_typeIfLj2EEffffjfiS5_IjLj3EEiiiiiiiiiiiliiliiiiil.kd
    .uniform_work_group_size: 1
    .uses_dynamic_stack: false
    .vgpr_count:     120
    .vgpr_spill_count: 0
    .wavefront_size: 64
  - .agpr_count:     0
    .args:
      - .address_space:  global
        .offset:         0
        .size:           8
        .value_kind:     global_buffer
      - .address_space:  global
        .offset:         8
        .size:           8
        .value_kind:     global_buffer
      - .address_space:  global
        .offset:         16
        .size:           8
        .value_kind:     global_buffer
      - .address_space:  global
        .offset:         24
        .size:           8
        .value_kind:     global_buffer
      - .address_space:  global
        .offset:         32
        .size:           8
        .value_kind:     global_buffer
      - .address_space:  global
        .offset:         40
        .size:           8
        .value_kind:     global_buffer
      - .address_space:  global
        .offset:         48
        .size:           8
        .value_kind:     global_buffer
      - .address_space:  global
        .offset:         56
        .size:           8
        .value_kind:     global_buffer
      - .offset:         64
        .size:           4
        .value_kind:     by_value
      - .offset:         68
        .size:           4
        .value_kind:     by_value
      - .offset:         72
        .size:           4
        .value_kind:     by_value
      - .offset:         76
        .size:           4
        .value_kind:     by_value
      - .offset:         80
        .size:           4
        .value_kind:     by_value
      - .offset:         84
        .size:           4
        .value_kind:     by_value
      - .offset:         88
        .size:           4
        .value_kind:     by_value
      - .offset:         92
        .size:           12
        .value_kind:     by_value
      - .offset:         104
        .size:           4
        .value_kind:     by_value
      - .offset:         108
        .size:           4
        .value_kind:     by_value
      - .offset:         112
        .size:           4
        .value_kind:     by_value
      - .offset:         116
        .size:           4
        .value_kind:     by_value
      - .offset:         120
        .size:           4
        .value_kind:     by_value
      - .offset:         124
        .size:           4
        .value_kind:     by_value
      - .offset:         128
        .size:           4
        .value_kind:     by_value
      - .offset:         132
        .size:           4
        .value_kind:     by_value
      - .offset:         136
        .size:           4
        .value_kind:     by_value
      - .offset:         140
        .size:           4
        .value_kind:     by_value
      - .offset:         144
        .size:           4
        .value_kind:     by_value
      - .offset:         152
        .size:           8
        .value_kind:     by_value
      - .offset:         160
        .size:           4
        .value_kind:     by_value
      - .offset:         164
        .size:           4
        .value_kind:     by_value
      - .offset:         168
        .size:           8
        .value_kind:     by_value
      - .offset:         176
        .size:           4
        .value_kind:     by_value
      - .offset:         180
        .size:           4
        .value_kind:     by_value
      - .offset:         184
        .size:           4
        .value_kind:     by_value
      - .offset:         188
        .size:           4
        .value_kind:     by_value
      - .offset:         192
        .size:           4
        .value_kind:     by_value
      - .offset:         200
        .size:           8
        .value_kind:     by_value
      - .offset:         208
        .size:           4
        .value_kind:     hidden_block_count_x
      - .offset:         212
        .size:           4
        .value_kind:     hidden_block_count_y
      - .offset:         216
        .size:           4
        .value_kind:     hidden_block_count_z
      - .offset:         220
        .size:           2
        .value_kind:     hidden_group_size_x
      - .offset:         222
        .size:           2
        .value_kind:     hidden_group_size_y
      - .offset:         224
        .size:           2
        .value_kind:     hidden_group_size_z
      - .offset:         226
        .size:           2
        .value_kind:     hidden_remainder_x
      - .offset:         228
        .size:           2
        .value_kind:     hidden_remainder_y
      - .offset:         230
        .size:           2
        .value_kind:     hidden_remainder_z
      - .offset:         248
        .size:           8
        .value_kind:     hidden_global_offset_x
      - .offset:         256
        .size:           8
        .value_kind:     hidden_global_offset_y
      - .offset:         264
        .size:           8
        .value_kind:     hidden_global_offset_z
      - .offset:         272
        .size:           2
        .value_kind:     hidden_grid_dims
    .group_segment_fixed_size: 27648
    .kernarg_segment_align: 8
    .kernarg_segment_size: 464
    .language:       OpenCL C
    .language_version:
      - 2
      - 0
    .max_flat_workgroup_size: 256
    .name:           _ZL15flash_attn_tileILi512ELi512ELi2ELi8ELb1EEvPKcS1_S1_S1_S1_PKiPfP15HIP_vector_typeIfLj2EEffffjfiS5_IjLj3EEiiiiiiiiiiiliiliiiiil
    .private_segment_fixed_size: 0
    .sgpr_count:     44
    .sgpr_spill_count: 0
    .symbol:         _ZL15flash_attn_tileILi512ELi512ELi2ELi8ELb1EEvPKcS1_S1_S1_S1_PKiPfP15HIP_vector_typeIfLj2EEffffjfiS5_IjLj3EEiiiiiiiiiiiliiliiiiil.kd
    .uniform_work_group_size: 1
    .uses_dynamic_stack: false
    .vgpr_count:     110
    .vgpr_spill_count: 0
    .wavefront_size: 64
  - .agpr_count:     0
    .args:
      - .address_space:  global
        .offset:         0
        .size:           8
        .value_kind:     global_buffer
      - .address_space:  global
        .offset:         8
        .size:           8
        .value_kind:     global_buffer
      - .address_space:  global
        .offset:         16
        .size:           8
        .value_kind:     global_buffer
      - .address_space:  global
        .offset:         24
        .size:           8
        .value_kind:     global_buffer
      - .address_space:  global
        .offset:         32
        .size:           8
        .value_kind:     global_buffer
      - .address_space:  global
        .offset:         40
        .size:           8
        .value_kind:     global_buffer
      - .address_space:  global
        .offset:         48
        .size:           8
        .value_kind:     global_buffer
      - .address_space:  global
        .offset:         56
        .size:           8
        .value_kind:     global_buffer
      - .offset:         64
        .size:           4
        .value_kind:     by_value
      - .offset:         68
        .size:           4
        .value_kind:     by_value
      - .offset:         72
        .size:           4
        .value_kind:     by_value
      - .offset:         76
        .size:           4
        .value_kind:     by_value
      - .offset:         80
        .size:           4
        .value_kind:     by_value
      - .offset:         84
        .size:           4
        .value_kind:     by_value
      - .offset:         88
        .size:           4
        .value_kind:     by_value
      - .offset:         92
        .size:           12
        .value_kind:     by_value
      - .offset:         104
        .size:           4
        .value_kind:     by_value
      - .offset:         108
        .size:           4
        .value_kind:     by_value
      - .offset:         112
        .size:           4
        .value_kind:     by_value
      - .offset:         116
        .size:           4
        .value_kind:     by_value
      - .offset:         120
        .size:           4
        .value_kind:     by_value
      - .offset:         124
        .size:           4
        .value_kind:     by_value
      - .offset:         128
        .size:           4
        .value_kind:     by_value
      - .offset:         132
        .size:           4
        .value_kind:     by_value
      - .offset:         136
        .size:           4
        .value_kind:     by_value
      - .offset:         140
        .size:           4
        .value_kind:     by_value
      - .offset:         144
        .size:           4
        .value_kind:     by_value
      - .offset:         152
        .size:           8
        .value_kind:     by_value
      - .offset:         160
        .size:           4
        .value_kind:     by_value
      - .offset:         164
        .size:           4
        .value_kind:     by_value
      - .offset:         168
        .size:           8
        .value_kind:     by_value
      - .offset:         176
        .size:           4
        .value_kind:     by_value
      - .offset:         180
        .size:           4
        .value_kind:     by_value
      - .offset:         184
        .size:           4
        .value_kind:     by_value
      - .offset:         188
        .size:           4
        .value_kind:     by_value
      - .offset:         192
        .size:           4
        .value_kind:     by_value
      - .offset:         200
        .size:           8
        .value_kind:     by_value
      - .offset:         208
        .size:           4
        .value_kind:     hidden_block_count_x
      - .offset:         212
        .size:           4
        .value_kind:     hidden_block_count_y
      - .offset:         216
        .size:           4
        .value_kind:     hidden_block_count_z
      - .offset:         220
        .size:           2
        .value_kind:     hidden_group_size_x
      - .offset:         222
        .size:           2
        .value_kind:     hidden_group_size_y
      - .offset:         224
        .size:           2
        .value_kind:     hidden_group_size_z
      - .offset:         226
        .size:           2
        .value_kind:     hidden_remainder_x
      - .offset:         228
        .size:           2
        .value_kind:     hidden_remainder_y
      - .offset:         230
        .size:           2
        .value_kind:     hidden_remainder_z
      - .offset:         248
        .size:           8
        .value_kind:     hidden_global_offset_x
      - .offset:         256
        .size:           8
        .value_kind:     hidden_global_offset_y
      - .offset:         264
        .size:           8
        .value_kind:     hidden_global_offset_z
      - .offset:         272
        .size:           2
        .value_kind:     hidden_grid_dims
    .group_segment_fixed_size: 18432
    .kernarg_segment_align: 8
    .kernarg_segment_size: 464
    .language:       OpenCL C
    .language_version:
      - 2
      - 0
    .max_flat_workgroup_size: 256
    .name:           _ZL15flash_attn_tileILi512ELi512ELi1ELi8ELb1EEvPKcS1_S1_S1_S1_PKiPfP15HIP_vector_typeIfLj2EEffffjfiS5_IjLj3EEiiiiiiiiiiiliiliiiiil
    .private_segment_fixed_size: 0
    .sgpr_count:     48
    .sgpr_spill_count: 0
    .symbol:         _ZL15flash_attn_tileILi512ELi512ELi1ELi8ELb1EEvPKcS1_S1_S1_S1_PKiPfP15HIP_vector_typeIfLj2EEffffjfiS5_IjLj3EEiiiiiiiiiiiliiliiiiil.kd
    .uniform_work_group_size: 1
    .uses_dynamic_stack: false
    .vgpr_count:     59
    .vgpr_spill_count: 0
    .wavefront_size: 64
  - .agpr_count:     0
    .args:
      - .address_space:  global
        .offset:         0
        .size:           8
        .value_kind:     global_buffer
      - .address_space:  global
        .offset:         8
        .size:           8
        .value_kind:     global_buffer
      - .address_space:  global
        .offset:         16
        .size:           8
        .value_kind:     global_buffer
      - .address_space:  global
        .offset:         24
        .size:           8
        .value_kind:     global_buffer
      - .address_space:  global
        .offset:         32
        .size:           8
        .value_kind:     global_buffer
      - .address_space:  global
        .offset:         40
        .size:           8
        .value_kind:     global_buffer
      - .address_space:  global
        .offset:         48
        .size:           8
        .value_kind:     global_buffer
      - .address_space:  global
        .offset:         56
        .size:           8
        .value_kind:     global_buffer
      - .offset:         64
        .size:           4
        .value_kind:     by_value
      - .offset:         68
        .size:           4
        .value_kind:     by_value
      - .offset:         72
        .size:           4
        .value_kind:     by_value
      - .offset:         76
        .size:           4
        .value_kind:     by_value
      - .offset:         80
        .size:           4
        .value_kind:     by_value
      - .offset:         84
        .size:           4
        .value_kind:     by_value
      - .offset:         88
        .size:           4
        .value_kind:     by_value
      - .offset:         92
        .size:           12
        .value_kind:     by_value
      - .offset:         104
        .size:           4
        .value_kind:     by_value
      - .offset:         108
        .size:           4
        .value_kind:     by_value
      - .offset:         112
        .size:           4
        .value_kind:     by_value
      - .offset:         116
        .size:           4
        .value_kind:     by_value
      - .offset:         120
        .size:           4
        .value_kind:     by_value
      - .offset:         124
        .size:           4
        .value_kind:     by_value
      - .offset:         128
        .size:           4
        .value_kind:     by_value
      - .offset:         132
        .size:           4
        .value_kind:     by_value
      - .offset:         136
        .size:           4
        .value_kind:     by_value
      - .offset:         140
        .size:           4
        .value_kind:     by_value
      - .offset:         144
        .size:           4
        .value_kind:     by_value
      - .offset:         152
        .size:           8
        .value_kind:     by_value
      - .offset:         160
        .size:           4
        .value_kind:     by_value
      - .offset:         164
        .size:           4
        .value_kind:     by_value
      - .offset:         168
        .size:           8
        .value_kind:     by_value
      - .offset:         176
        .size:           4
        .value_kind:     by_value
      - .offset:         180
        .size:           4
        .value_kind:     by_value
      - .offset:         184
        .size:           4
        .value_kind:     by_value
      - .offset:         188
        .size:           4
        .value_kind:     by_value
      - .offset:         192
        .size:           4
        .value_kind:     by_value
      - .offset:         200
        .size:           8
        .value_kind:     by_value
      - .offset:         208
        .size:           4
        .value_kind:     hidden_block_count_x
      - .offset:         212
        .size:           4
        .value_kind:     hidden_block_count_y
      - .offset:         216
        .size:           4
        .value_kind:     hidden_block_count_z
      - .offset:         220
        .size:           2
        .value_kind:     hidden_group_size_x
      - .offset:         222
        .size:           2
        .value_kind:     hidden_group_size_y
      - .offset:         224
        .size:           2
        .value_kind:     hidden_group_size_z
      - .offset:         226
        .size:           2
        .value_kind:     hidden_remainder_x
      - .offset:         228
        .size:           2
        .value_kind:     hidden_remainder_y
      - .offset:         230
        .size:           2
        .value_kind:     hidden_remainder_z
      - .offset:         248
        .size:           8
        .value_kind:     hidden_global_offset_x
      - .offset:         256
        .size:           8
        .value_kind:     hidden_global_offset_y
      - .offset:         264
        .size:           8
        .value_kind:     hidden_global_offset_z
      - .offset:         272
        .size:           2
        .value_kind:     hidden_grid_dims
    .group_segment_fixed_size: 59392
    .kernarg_segment_align: 8
    .kernarg_segment_size: 464
    .language:       OpenCL C
    .language_version:
      - 2
      - 0
    .max_flat_workgroup_size: 512
    .name:           _ZL15flash_attn_tileILi512ELi512ELi8ELi4ELb1EEvPKcS1_S1_S1_S1_PKiPfP15HIP_vector_typeIfLj2EEffffjfiS5_IjLj3EEiiiiiiiiiiiliiliiiiil
    .private_segment_fixed_size: 0
    .sgpr_count:     44
    .sgpr_spill_count: 0
    .symbol:         _ZL15flash_attn_tileILi512ELi512ELi8ELi4ELb1EEvPKcS1_S1_S1_S1_PKiPfP15HIP_vector_typeIfLj2EEffffjfiS5_IjLj3EEiiiiiiiiiiiliiliiiiil.kd
    .uniform_work_group_size: 1
    .uses_dynamic_stack: false
    .vgpr_count:     120
    .vgpr_spill_count: 0
    .wavefront_size: 64
  - .agpr_count:     0
    .args:
      - .address_space:  global
        .offset:         0
        .size:           8
        .value_kind:     global_buffer
      - .address_space:  global
        .offset:         8
        .size:           8
        .value_kind:     global_buffer
      - .address_space:  global
        .offset:         16
        .size:           8
        .value_kind:     global_buffer
      - .address_space:  global
        .offset:         24
        .size:           8
        .value_kind:     global_buffer
      - .address_space:  global
        .offset:         32
        .size:           8
        .value_kind:     global_buffer
      - .address_space:  global
        .offset:         40
        .size:           8
        .value_kind:     global_buffer
      - .address_space:  global
        .offset:         48
        .size:           8
        .value_kind:     global_buffer
      - .address_space:  global
        .offset:         56
        .size:           8
        .value_kind:     global_buffer
      - .offset:         64
        .size:           4
        .value_kind:     by_value
      - .offset:         68
        .size:           4
        .value_kind:     by_value
      - .offset:         72
        .size:           4
        .value_kind:     by_value
      - .offset:         76
        .size:           4
        .value_kind:     by_value
      - .offset:         80
        .size:           4
        .value_kind:     by_value
      - .offset:         84
        .size:           4
        .value_kind:     by_value
      - .offset:         88
        .size:           4
        .value_kind:     by_value
      - .offset:         92
        .size:           12
        .value_kind:     by_value
      - .offset:         104
        .size:           4
        .value_kind:     by_value
      - .offset:         108
        .size:           4
        .value_kind:     by_value
      - .offset:         112
        .size:           4
        .value_kind:     by_value
      - .offset:         116
        .size:           4
        .value_kind:     by_value
      - .offset:         120
        .size:           4
        .value_kind:     by_value
      - .offset:         124
        .size:           4
        .value_kind:     by_value
      - .offset:         128
        .size:           4
        .value_kind:     by_value
      - .offset:         132
        .size:           4
        .value_kind:     by_value
      - .offset:         136
        .size:           4
        .value_kind:     by_value
      - .offset:         140
        .size:           4
        .value_kind:     by_value
      - .offset:         144
        .size:           4
        .value_kind:     by_value
      - .offset:         152
        .size:           8
        .value_kind:     by_value
      - .offset:         160
        .size:           4
        .value_kind:     by_value
      - .offset:         164
        .size:           4
        .value_kind:     by_value
      - .offset:         168
        .size:           8
        .value_kind:     by_value
      - .offset:         176
        .size:           4
        .value_kind:     by_value
      - .offset:         180
        .size:           4
        .value_kind:     by_value
      - .offset:         184
        .size:           4
        .value_kind:     by_value
      - .offset:         188
        .size:           4
        .value_kind:     by_value
      - .offset:         192
        .size:           4
        .value_kind:     by_value
      - .offset:         200
        .size:           8
        .value_kind:     by_value
      - .offset:         208
        .size:           4
        .value_kind:     hidden_block_count_x
      - .offset:         212
        .size:           4
        .value_kind:     hidden_block_count_y
      - .offset:         216
        .size:           4
        .value_kind:     hidden_block_count_z
      - .offset:         220
        .size:           2
        .value_kind:     hidden_group_size_x
      - .offset:         222
        .size:           2
        .value_kind:     hidden_group_size_y
      - .offset:         224
        .size:           2
        .value_kind:     hidden_group_size_z
      - .offset:         226
        .size:           2
        .value_kind:     hidden_remainder_x
      - .offset:         228
        .size:           2
        .value_kind:     hidden_remainder_y
      - .offset:         230
        .size:           2
        .value_kind:     hidden_remainder_z
      - .offset:         248
        .size:           8
        .value_kind:     hidden_global_offset_x
      - .offset:         256
        .size:           8
        .value_kind:     hidden_global_offset_y
      - .offset:         264
        .size:           8
        .value_kind:     hidden_global_offset_z
      - .offset:         272
        .size:           2
        .value_kind:     hidden_grid_dims
    .group_segment_fixed_size: 27648
    .kernarg_segment_align: 8
    .kernarg_segment_size: 464
    .language:       OpenCL C
    .language_version:
      - 2
      - 0
    .max_flat_workgroup_size: 256
    .name:           _ZL15flash_attn_tileILi512ELi512ELi4ELi4ELb1EEvPKcS1_S1_S1_S1_PKiPfP15HIP_vector_typeIfLj2EEffffjfiS5_IjLj3EEiiiiiiiiiiiliiliiiiil
    .private_segment_fixed_size: 0
    .sgpr_count:     44
    .sgpr_spill_count: 0
    .symbol:         _ZL15flash_attn_tileILi512ELi512ELi4ELi4ELb1EEvPKcS1_S1_S1_S1_PKiPfP15HIP_vector_typeIfLj2EEffffjfiS5_IjLj3EEiiiiiiiiiiiliiliiiiil.kd
    .uniform_work_group_size: 1
    .uses_dynamic_stack: false
    .vgpr_count:     110
    .vgpr_spill_count: 0
    .wavefront_size: 64
  - .agpr_count:     0
    .args:
      - .address_space:  global
        .offset:         0
        .size:           8
        .value_kind:     global_buffer
      - .address_space:  global
        .offset:         8
        .size:           8
        .value_kind:     global_buffer
      - .address_space:  global
        .offset:         16
        .size:           8
        .value_kind:     global_buffer
      - .address_space:  global
        .offset:         24
        .size:           8
        .value_kind:     global_buffer
      - .address_space:  global
        .offset:         32
        .size:           8
        .value_kind:     global_buffer
      - .address_space:  global
        .offset:         40
        .size:           8
        .value_kind:     global_buffer
      - .address_space:  global
        .offset:         48
        .size:           8
        .value_kind:     global_buffer
      - .address_space:  global
        .offset:         56
        .size:           8
        .value_kind:     global_buffer
      - .offset:         64
        .size:           4
        .value_kind:     by_value
      - .offset:         68
        .size:           4
        .value_kind:     by_value
      - .offset:         72
        .size:           4
        .value_kind:     by_value
      - .offset:         76
        .size:           4
        .value_kind:     by_value
      - .offset:         80
        .size:           4
        .value_kind:     by_value
      - .offset:         84
        .size:           4
        .value_kind:     by_value
      - .offset:         88
        .size:           4
        .value_kind:     by_value
      - .offset:         92
        .size:           12
        .value_kind:     by_value
      - .offset:         104
        .size:           4
        .value_kind:     by_value
      - .offset:         108
        .size:           4
        .value_kind:     by_value
      - .offset:         112
        .size:           4
        .value_kind:     by_value
      - .offset:         116
        .size:           4
        .value_kind:     by_value
      - .offset:         120
        .size:           4
        .value_kind:     by_value
      - .offset:         124
        .size:           4
        .value_kind:     by_value
      - .offset:         128
        .size:           4
        .value_kind:     by_value
      - .offset:         132
        .size:           4
        .value_kind:     by_value
      - .offset:         136
        .size:           4
        .value_kind:     by_value
      - .offset:         140
        .size:           4
        .value_kind:     by_value
      - .offset:         144
        .size:           4
        .value_kind:     by_value
      - .offset:         152
        .size:           8
        .value_kind:     by_value
      - .offset:         160
        .size:           4
        .value_kind:     by_value
      - .offset:         164
        .size:           4
        .value_kind:     by_value
      - .offset:         168
        .size:           8
        .value_kind:     by_value
      - .offset:         176
        .size:           4
        .value_kind:     by_value
      - .offset:         180
        .size:           4
        .value_kind:     by_value
      - .offset:         184
        .size:           4
        .value_kind:     by_value
      - .offset:         188
        .size:           4
        .value_kind:     by_value
      - .offset:         192
        .size:           4
        .value_kind:     by_value
      - .offset:         200
        .size:           8
        .value_kind:     by_value
      - .offset:         208
        .size:           4
        .value_kind:     hidden_block_count_x
      - .offset:         212
        .size:           4
        .value_kind:     hidden_block_count_y
      - .offset:         216
        .size:           4
        .value_kind:     hidden_block_count_z
      - .offset:         220
        .size:           2
        .value_kind:     hidden_group_size_x
      - .offset:         222
        .size:           2
        .value_kind:     hidden_group_size_y
      - .offset:         224
        .size:           2
        .value_kind:     hidden_group_size_z
      - .offset:         226
        .size:           2
        .value_kind:     hidden_remainder_x
      - .offset:         228
        .size:           2
        .value_kind:     hidden_remainder_y
      - .offset:         230
        .size:           2
        .value_kind:     hidden_remainder_z
      - .offset:         248
        .size:           8
        .value_kind:     hidden_global_offset_x
      - .offset:         256
        .size:           8
        .value_kind:     hidden_global_offset_y
      - .offset:         264
        .size:           8
        .value_kind:     hidden_global_offset_z
      - .offset:         272
        .size:           2
        .value_kind:     hidden_grid_dims
    .group_segment_fixed_size: 18432
    .kernarg_segment_align: 8
    .kernarg_segment_size: 464
    .language:       OpenCL C
    .language_version:
      - 2
      - 0
    .max_flat_workgroup_size: 256
    .name:           _ZL15flash_attn_tileILi512ELi512ELi2ELi4ELb1EEvPKcS1_S1_S1_S1_PKiPfP15HIP_vector_typeIfLj2EEffffjfiS5_IjLj3EEiiiiiiiiiiiliiliiiiil
    .private_segment_fixed_size: 0
    .sgpr_count:     48
    .sgpr_spill_count: 0
    .symbol:         _ZL15flash_attn_tileILi512ELi512ELi2ELi4ELb1EEvPKcS1_S1_S1_S1_PKiPfP15HIP_vector_typeIfLj2EEffffjfiS5_IjLj3EEiiiiiiiiiiiliiliiiiil.kd
    .uniform_work_group_size: 1
    .uses_dynamic_stack: false
    .vgpr_count:     59
    .vgpr_spill_count: 0
    .wavefront_size: 64
  - .agpr_count:     0
    .args:
      - .address_space:  global
        .offset:         0
        .size:           8
        .value_kind:     global_buffer
      - .address_space:  global
        .offset:         8
        .size:           8
        .value_kind:     global_buffer
      - .address_space:  global
        .offset:         16
        .size:           8
        .value_kind:     global_buffer
      - .address_space:  global
        .offset:         24
        .size:           8
        .value_kind:     global_buffer
      - .address_space:  global
        .offset:         32
        .size:           8
        .value_kind:     global_buffer
      - .address_space:  global
        .offset:         40
        .size:           8
        .value_kind:     global_buffer
      - .address_space:  global
        .offset:         48
        .size:           8
        .value_kind:     global_buffer
      - .address_space:  global
        .offset:         56
        .size:           8
        .value_kind:     global_buffer
      - .offset:         64
        .size:           4
        .value_kind:     by_value
      - .offset:         68
        .size:           4
        .value_kind:     by_value
      - .offset:         72
        .size:           4
        .value_kind:     by_value
      - .offset:         76
        .size:           4
        .value_kind:     by_value
      - .offset:         80
        .size:           4
        .value_kind:     by_value
      - .offset:         84
        .size:           4
        .value_kind:     by_value
      - .offset:         88
        .size:           4
        .value_kind:     by_value
      - .offset:         92
        .size:           12
        .value_kind:     by_value
      - .offset:         104
        .size:           4
        .value_kind:     by_value
      - .offset:         108
        .size:           4
        .value_kind:     by_value
      - .offset:         112
        .size:           4
        .value_kind:     by_value
      - .offset:         116
        .size:           4
        .value_kind:     by_value
      - .offset:         120
        .size:           4
        .value_kind:     by_value
      - .offset:         124
        .size:           4
        .value_kind:     by_value
      - .offset:         128
        .size:           4
        .value_kind:     by_value
      - .offset:         132
        .size:           4
        .value_kind:     by_value
      - .offset:         136
        .size:           4
        .value_kind:     by_value
      - .offset:         140
        .size:           4
        .value_kind:     by_value
      - .offset:         144
        .size:           4
        .value_kind:     by_value
      - .offset:         152
        .size:           8
        .value_kind:     by_value
      - .offset:         160
        .size:           4
        .value_kind:     by_value
      - .offset:         164
        .size:           4
        .value_kind:     by_value
      - .offset:         168
        .size:           8
        .value_kind:     by_value
      - .offset:         176
        .size:           4
        .value_kind:     by_value
      - .offset:         180
        .size:           4
        .value_kind:     by_value
      - .offset:         184
        .size:           4
        .value_kind:     by_value
      - .offset:         188
        .size:           4
        .value_kind:     by_value
      - .offset:         192
        .size:           4
        .value_kind:     by_value
      - .offset:         200
        .size:           8
        .value_kind:     by_value
      - .offset:         208
        .size:           4
        .value_kind:     hidden_block_count_x
      - .offset:         212
        .size:           4
        .value_kind:     hidden_block_count_y
      - .offset:         216
        .size:           4
        .value_kind:     hidden_block_count_z
      - .offset:         220
        .size:           2
        .value_kind:     hidden_group_size_x
      - .offset:         222
        .size:           2
        .value_kind:     hidden_group_size_y
      - .offset:         224
        .size:           2
        .value_kind:     hidden_group_size_z
      - .offset:         226
        .size:           2
        .value_kind:     hidden_remainder_x
      - .offset:         228
        .size:           2
        .value_kind:     hidden_remainder_y
      - .offset:         230
        .size:           2
        .value_kind:     hidden_remainder_z
      - .offset:         248
        .size:           8
        .value_kind:     hidden_global_offset_x
      - .offset:         256
        .size:           8
        .value_kind:     hidden_global_offset_y
      - .offset:         264
        .size:           8
        .value_kind:     hidden_global_offset_z
      - .offset:         272
        .size:           2
        .value_kind:     hidden_grid_dims
    .group_segment_fixed_size: 13824
    .kernarg_segment_align: 8
    .kernarg_segment_size: 464
    .language:       OpenCL C
    .language_version:
      - 2
      - 0
    .max_flat_workgroup_size: 128
    .name:           _ZL15flash_attn_tileILi512ELi512ELi1ELi4ELb1EEvPKcS1_S1_S1_S1_PKiPfP15HIP_vector_typeIfLj2EEffffjfiS5_IjLj3EEiiiiiiiiiiiliiliiiiil
    .private_segment_fixed_size: 0
    .sgpr_count:     48
    .sgpr_spill_count: 0
    .symbol:         _ZL15flash_attn_tileILi512ELi512ELi1ELi4ELb1EEvPKcS1_S1_S1_S1_PKiPfP15HIP_vector_typeIfLj2EEffffjfiS5_IjLj3EEiiiiiiiiiiiliiliiiiil.kd
    .uniform_work_group_size: 1
    .uses_dynamic_stack: false
    .vgpr_count:     215
    .vgpr_spill_count: 0
    .wavefront_size: 64
amdhsa.target:   amdgcn-amd-amdhsa--gfx90a
amdhsa.version:
  - 1
  - 2
...

	.end_amdgpu_metadata
